;; amdgpu-corpus repo=ROCm/hipCUB kind=compiled arch=gfx1100 opt=O3
	.text
	.amdgcn_target "amdgcn-amd-amdhsa--gfx1100"
	.amdhsa_code_object_version 6
	.section	.text._Z18warp_reduce_kernelIfLj1ELj61EENSt9enable_ifIXntsr10test_utilsE35device_test_enabled_for_warp_size_vIXT1_EEEvE4typeEPT_S4_,"axG",@progbits,_Z18warp_reduce_kernelIfLj1ELj61EENSt9enable_ifIXntsr10test_utilsE35device_test_enabled_for_warp_size_vIXT1_EEEvE4typeEPT_S4_,comdat
	.protected	_Z18warp_reduce_kernelIfLj1ELj61EENSt9enable_ifIXntsr10test_utilsE35device_test_enabled_for_warp_size_vIXT1_EEEvE4typeEPT_S4_ ; -- Begin function _Z18warp_reduce_kernelIfLj1ELj61EENSt9enable_ifIXntsr10test_utilsE35device_test_enabled_for_warp_size_vIXT1_EEEvE4typeEPT_S4_
	.globl	_Z18warp_reduce_kernelIfLj1ELj61EENSt9enable_ifIXntsr10test_utilsE35device_test_enabled_for_warp_size_vIXT1_EEEvE4typeEPT_S4_
	.p2align	8
	.type	_Z18warp_reduce_kernelIfLj1ELj61EENSt9enable_ifIXntsr10test_utilsE35device_test_enabled_for_warp_size_vIXT1_EEEvE4typeEPT_S4_,@function
_Z18warp_reduce_kernelIfLj1ELj61EENSt9enable_ifIXntsr10test_utilsE35device_test_enabled_for_warp_size_vIXT1_EEEvE4typeEPT_S4_: ; @_Z18warp_reduce_kernelIfLj1ELj61EENSt9enable_ifIXntsr10test_utilsE35device_test_enabled_for_warp_size_vIXT1_EEEvE4typeEPT_S4_
; %bb.0:
	s_endpgm
	.section	.rodata,"a",@progbits
	.p2align	6, 0x0
	.amdhsa_kernel _Z18warp_reduce_kernelIfLj1ELj61EENSt9enable_ifIXntsr10test_utilsE35device_test_enabled_for_warp_size_vIXT1_EEEvE4typeEPT_S4_
		.amdhsa_group_segment_fixed_size 0
		.amdhsa_private_segment_fixed_size 0
		.amdhsa_kernarg_size 16
		.amdhsa_user_sgpr_count 15
		.amdhsa_user_sgpr_dispatch_ptr 0
		.amdhsa_user_sgpr_queue_ptr 0
		.amdhsa_user_sgpr_kernarg_segment_ptr 1
		.amdhsa_user_sgpr_dispatch_id 0
		.amdhsa_user_sgpr_private_segment_size 0
		.amdhsa_wavefront_size32 1
		.amdhsa_uses_dynamic_stack 0
		.amdhsa_enable_private_segment 0
		.amdhsa_system_sgpr_workgroup_id_x 1
		.amdhsa_system_sgpr_workgroup_id_y 0
		.amdhsa_system_sgpr_workgroup_id_z 0
		.amdhsa_system_sgpr_workgroup_info 0
		.amdhsa_system_vgpr_workitem_id 0
		.amdhsa_next_free_vgpr 1
		.amdhsa_next_free_sgpr 1
		.amdhsa_reserve_vcc 0
		.amdhsa_float_round_mode_32 0
		.amdhsa_float_round_mode_16_64 0
		.amdhsa_float_denorm_mode_32 3
		.amdhsa_float_denorm_mode_16_64 3
		.amdhsa_dx10_clamp 1
		.amdhsa_ieee_mode 1
		.amdhsa_fp16_overflow 0
		.amdhsa_workgroup_processor_mode 1
		.amdhsa_memory_ordered 1
		.amdhsa_forward_progress 0
		.amdhsa_shared_vgpr_count 0
		.amdhsa_exception_fp_ieee_invalid_op 0
		.amdhsa_exception_fp_denorm_src 0
		.amdhsa_exception_fp_ieee_div_zero 0
		.amdhsa_exception_fp_ieee_overflow 0
		.amdhsa_exception_fp_ieee_underflow 0
		.amdhsa_exception_fp_ieee_inexact 0
		.amdhsa_exception_int_div_zero 0
	.end_amdhsa_kernel
	.section	.text._Z18warp_reduce_kernelIfLj1ELj61EENSt9enable_ifIXntsr10test_utilsE35device_test_enabled_for_warp_size_vIXT1_EEEvE4typeEPT_S4_,"axG",@progbits,_Z18warp_reduce_kernelIfLj1ELj61EENSt9enable_ifIXntsr10test_utilsE35device_test_enabled_for_warp_size_vIXT1_EEEvE4typeEPT_S4_,comdat
.Lfunc_end0:
	.size	_Z18warp_reduce_kernelIfLj1ELj61EENSt9enable_ifIXntsr10test_utilsE35device_test_enabled_for_warp_size_vIXT1_EEEvE4typeEPT_S4_, .Lfunc_end0-_Z18warp_reduce_kernelIfLj1ELj61EENSt9enable_ifIXntsr10test_utilsE35device_test_enabled_for_warp_size_vIXT1_EEEvE4typeEPT_S4_
                                        ; -- End function
	.section	.AMDGPU.csdata,"",@progbits
; Kernel info:
; codeLenInByte = 4
; NumSgprs: 0
; NumVgprs: 0
; ScratchSize: 0
; MemoryBound: 0
; FloatMode: 240
; IeeeMode: 1
; LDSByteSize: 0 bytes/workgroup (compile time only)
; SGPRBlocks: 0
; VGPRBlocks: 0
; NumSGPRsForWavesPerEU: 1
; NumVGPRsForWavesPerEU: 1
; Occupancy: 16
; WaveLimiterHint : 0
; COMPUTE_PGM_RSRC2:SCRATCH_EN: 0
; COMPUTE_PGM_RSRC2:USER_SGPR: 15
; COMPUTE_PGM_RSRC2:TRAP_HANDLER: 0
; COMPUTE_PGM_RSRC2:TGID_X_EN: 1
; COMPUTE_PGM_RSRC2:TGID_Y_EN: 0
; COMPUTE_PGM_RSRC2:TGID_Z_EN: 0
; COMPUTE_PGM_RSRC2:TIDIG_COMP_CNT: 0
	.section	.text._Z18warp_reduce_kernelIfLj61ELj61EENSt9enable_ifIXntsr10test_utilsE35device_test_enabled_for_warp_size_vIXT1_EEEvE4typeEPT_S4_,"axG",@progbits,_Z18warp_reduce_kernelIfLj61ELj61EENSt9enable_ifIXntsr10test_utilsE35device_test_enabled_for_warp_size_vIXT1_EEEvE4typeEPT_S4_,comdat
	.protected	_Z18warp_reduce_kernelIfLj61ELj61EENSt9enable_ifIXntsr10test_utilsE35device_test_enabled_for_warp_size_vIXT1_EEEvE4typeEPT_S4_ ; -- Begin function _Z18warp_reduce_kernelIfLj61ELj61EENSt9enable_ifIXntsr10test_utilsE35device_test_enabled_for_warp_size_vIXT1_EEEvE4typeEPT_S4_
	.globl	_Z18warp_reduce_kernelIfLj61ELj61EENSt9enable_ifIXntsr10test_utilsE35device_test_enabled_for_warp_size_vIXT1_EEEvE4typeEPT_S4_
	.p2align	8
	.type	_Z18warp_reduce_kernelIfLj61ELj61EENSt9enable_ifIXntsr10test_utilsE35device_test_enabled_for_warp_size_vIXT1_EEEvE4typeEPT_S4_,@function
_Z18warp_reduce_kernelIfLj61ELj61EENSt9enable_ifIXntsr10test_utilsE35device_test_enabled_for_warp_size_vIXT1_EEEvE4typeEPT_S4_: ; @_Z18warp_reduce_kernelIfLj61ELj61EENSt9enable_ifIXntsr10test_utilsE35device_test_enabled_for_warp_size_vIXT1_EEEvE4typeEPT_S4_
; %bb.0:
	s_endpgm
	.section	.rodata,"a",@progbits
	.p2align	6, 0x0
	.amdhsa_kernel _Z18warp_reduce_kernelIfLj61ELj61EENSt9enable_ifIXntsr10test_utilsE35device_test_enabled_for_warp_size_vIXT1_EEEvE4typeEPT_S4_
		.amdhsa_group_segment_fixed_size 0
		.amdhsa_private_segment_fixed_size 0
		.amdhsa_kernarg_size 16
		.amdhsa_user_sgpr_count 15
		.amdhsa_user_sgpr_dispatch_ptr 0
		.amdhsa_user_sgpr_queue_ptr 0
		.amdhsa_user_sgpr_kernarg_segment_ptr 1
		.amdhsa_user_sgpr_dispatch_id 0
		.amdhsa_user_sgpr_private_segment_size 0
		.amdhsa_wavefront_size32 1
		.amdhsa_uses_dynamic_stack 0
		.amdhsa_enable_private_segment 0
		.amdhsa_system_sgpr_workgroup_id_x 1
		.amdhsa_system_sgpr_workgroup_id_y 0
		.amdhsa_system_sgpr_workgroup_id_z 0
		.amdhsa_system_sgpr_workgroup_info 0
		.amdhsa_system_vgpr_workitem_id 0
		.amdhsa_next_free_vgpr 1
		.amdhsa_next_free_sgpr 1
		.amdhsa_reserve_vcc 0
		.amdhsa_float_round_mode_32 0
		.amdhsa_float_round_mode_16_64 0
		.amdhsa_float_denorm_mode_32 3
		.amdhsa_float_denorm_mode_16_64 3
		.amdhsa_dx10_clamp 1
		.amdhsa_ieee_mode 1
		.amdhsa_fp16_overflow 0
		.amdhsa_workgroup_processor_mode 1
		.amdhsa_memory_ordered 1
		.amdhsa_forward_progress 0
		.amdhsa_shared_vgpr_count 0
		.amdhsa_exception_fp_ieee_invalid_op 0
		.amdhsa_exception_fp_denorm_src 0
		.amdhsa_exception_fp_ieee_div_zero 0
		.amdhsa_exception_fp_ieee_overflow 0
		.amdhsa_exception_fp_ieee_underflow 0
		.amdhsa_exception_fp_ieee_inexact 0
		.amdhsa_exception_int_div_zero 0
	.end_amdhsa_kernel
	.section	.text._Z18warp_reduce_kernelIfLj61ELj61EENSt9enable_ifIXntsr10test_utilsE35device_test_enabled_for_warp_size_vIXT1_EEEvE4typeEPT_S4_,"axG",@progbits,_Z18warp_reduce_kernelIfLj61ELj61EENSt9enable_ifIXntsr10test_utilsE35device_test_enabled_for_warp_size_vIXT1_EEEvE4typeEPT_S4_,comdat
.Lfunc_end1:
	.size	_Z18warp_reduce_kernelIfLj61ELj61EENSt9enable_ifIXntsr10test_utilsE35device_test_enabled_for_warp_size_vIXT1_EEEvE4typeEPT_S4_, .Lfunc_end1-_Z18warp_reduce_kernelIfLj61ELj61EENSt9enable_ifIXntsr10test_utilsE35device_test_enabled_for_warp_size_vIXT1_EEEvE4typeEPT_S4_
                                        ; -- End function
	.section	.AMDGPU.csdata,"",@progbits
; Kernel info:
; codeLenInByte = 4
; NumSgprs: 0
; NumVgprs: 0
; ScratchSize: 0
; MemoryBound: 0
; FloatMode: 240
; IeeeMode: 1
; LDSByteSize: 0 bytes/workgroup (compile time only)
; SGPRBlocks: 0
; VGPRBlocks: 0
; NumSGPRsForWavesPerEU: 1
; NumVGPRsForWavesPerEU: 1
; Occupancy: 16
; WaveLimiterHint : 0
; COMPUTE_PGM_RSRC2:SCRATCH_EN: 0
; COMPUTE_PGM_RSRC2:USER_SGPR: 15
; COMPUTE_PGM_RSRC2:TRAP_HANDLER: 0
; COMPUTE_PGM_RSRC2:TGID_X_EN: 1
; COMPUTE_PGM_RSRC2:TGID_Y_EN: 0
; COMPUTE_PGM_RSRC2:TGID_Z_EN: 0
; COMPUTE_PGM_RSRC2:TIDIG_COMP_CNT: 0
	.section	.text._Z18warp_reduce_kernelIfLj1ELj37EENSt9enable_ifIXntsr10test_utilsE35device_test_enabled_for_warp_size_vIXT1_EEEvE4typeEPT_S4_,"axG",@progbits,_Z18warp_reduce_kernelIfLj1ELj37EENSt9enable_ifIXntsr10test_utilsE35device_test_enabled_for_warp_size_vIXT1_EEEvE4typeEPT_S4_,comdat
	.protected	_Z18warp_reduce_kernelIfLj1ELj37EENSt9enable_ifIXntsr10test_utilsE35device_test_enabled_for_warp_size_vIXT1_EEEvE4typeEPT_S4_ ; -- Begin function _Z18warp_reduce_kernelIfLj1ELj37EENSt9enable_ifIXntsr10test_utilsE35device_test_enabled_for_warp_size_vIXT1_EEEvE4typeEPT_S4_
	.globl	_Z18warp_reduce_kernelIfLj1ELj37EENSt9enable_ifIXntsr10test_utilsE35device_test_enabled_for_warp_size_vIXT1_EEEvE4typeEPT_S4_
	.p2align	8
	.type	_Z18warp_reduce_kernelIfLj1ELj37EENSt9enable_ifIXntsr10test_utilsE35device_test_enabled_for_warp_size_vIXT1_EEEvE4typeEPT_S4_,@function
_Z18warp_reduce_kernelIfLj1ELj37EENSt9enable_ifIXntsr10test_utilsE35device_test_enabled_for_warp_size_vIXT1_EEEvE4typeEPT_S4_: ; @_Z18warp_reduce_kernelIfLj1ELj37EENSt9enable_ifIXntsr10test_utilsE35device_test_enabled_for_warp_size_vIXT1_EEEvE4typeEPT_S4_
; %bb.0:
	s_endpgm
	.section	.rodata,"a",@progbits
	.p2align	6, 0x0
	.amdhsa_kernel _Z18warp_reduce_kernelIfLj1ELj37EENSt9enable_ifIXntsr10test_utilsE35device_test_enabled_for_warp_size_vIXT1_EEEvE4typeEPT_S4_
		.amdhsa_group_segment_fixed_size 0
		.amdhsa_private_segment_fixed_size 0
		.amdhsa_kernarg_size 16
		.amdhsa_user_sgpr_count 15
		.amdhsa_user_sgpr_dispatch_ptr 0
		.amdhsa_user_sgpr_queue_ptr 0
		.amdhsa_user_sgpr_kernarg_segment_ptr 1
		.amdhsa_user_sgpr_dispatch_id 0
		.amdhsa_user_sgpr_private_segment_size 0
		.amdhsa_wavefront_size32 1
		.amdhsa_uses_dynamic_stack 0
		.amdhsa_enable_private_segment 0
		.amdhsa_system_sgpr_workgroup_id_x 1
		.amdhsa_system_sgpr_workgroup_id_y 0
		.amdhsa_system_sgpr_workgroup_id_z 0
		.amdhsa_system_sgpr_workgroup_info 0
		.amdhsa_system_vgpr_workitem_id 0
		.amdhsa_next_free_vgpr 1
		.amdhsa_next_free_sgpr 1
		.amdhsa_reserve_vcc 0
		.amdhsa_float_round_mode_32 0
		.amdhsa_float_round_mode_16_64 0
		.amdhsa_float_denorm_mode_32 3
		.amdhsa_float_denorm_mode_16_64 3
		.amdhsa_dx10_clamp 1
		.amdhsa_ieee_mode 1
		.amdhsa_fp16_overflow 0
		.amdhsa_workgroup_processor_mode 1
		.amdhsa_memory_ordered 1
		.amdhsa_forward_progress 0
		.amdhsa_shared_vgpr_count 0
		.amdhsa_exception_fp_ieee_invalid_op 0
		.amdhsa_exception_fp_denorm_src 0
		.amdhsa_exception_fp_ieee_div_zero 0
		.amdhsa_exception_fp_ieee_overflow 0
		.amdhsa_exception_fp_ieee_underflow 0
		.amdhsa_exception_fp_ieee_inexact 0
		.amdhsa_exception_int_div_zero 0
	.end_amdhsa_kernel
	.section	.text._Z18warp_reduce_kernelIfLj1ELj37EENSt9enable_ifIXntsr10test_utilsE35device_test_enabled_for_warp_size_vIXT1_EEEvE4typeEPT_S4_,"axG",@progbits,_Z18warp_reduce_kernelIfLj1ELj37EENSt9enable_ifIXntsr10test_utilsE35device_test_enabled_for_warp_size_vIXT1_EEEvE4typeEPT_S4_,comdat
.Lfunc_end2:
	.size	_Z18warp_reduce_kernelIfLj1ELj37EENSt9enable_ifIXntsr10test_utilsE35device_test_enabled_for_warp_size_vIXT1_EEEvE4typeEPT_S4_, .Lfunc_end2-_Z18warp_reduce_kernelIfLj1ELj37EENSt9enable_ifIXntsr10test_utilsE35device_test_enabled_for_warp_size_vIXT1_EEEvE4typeEPT_S4_
                                        ; -- End function
	.section	.AMDGPU.csdata,"",@progbits
; Kernel info:
; codeLenInByte = 4
; NumSgprs: 0
; NumVgprs: 0
; ScratchSize: 0
; MemoryBound: 0
; FloatMode: 240
; IeeeMode: 1
; LDSByteSize: 0 bytes/workgroup (compile time only)
; SGPRBlocks: 0
; VGPRBlocks: 0
; NumSGPRsForWavesPerEU: 1
; NumVGPRsForWavesPerEU: 1
; Occupancy: 16
; WaveLimiterHint : 0
; COMPUTE_PGM_RSRC2:SCRATCH_EN: 0
; COMPUTE_PGM_RSRC2:USER_SGPR: 15
; COMPUTE_PGM_RSRC2:TRAP_HANDLER: 0
; COMPUTE_PGM_RSRC2:TGID_X_EN: 1
; COMPUTE_PGM_RSRC2:TGID_Y_EN: 0
; COMPUTE_PGM_RSRC2:TGID_Z_EN: 0
; COMPUTE_PGM_RSRC2:TIDIG_COMP_CNT: 0
	.section	.text._Z18warp_reduce_kernelIfLj37ELj37EENSt9enable_ifIXntsr10test_utilsE35device_test_enabled_for_warp_size_vIXT1_EEEvE4typeEPT_S4_,"axG",@progbits,_Z18warp_reduce_kernelIfLj37ELj37EENSt9enable_ifIXntsr10test_utilsE35device_test_enabled_for_warp_size_vIXT1_EEEvE4typeEPT_S4_,comdat
	.protected	_Z18warp_reduce_kernelIfLj37ELj37EENSt9enable_ifIXntsr10test_utilsE35device_test_enabled_for_warp_size_vIXT1_EEEvE4typeEPT_S4_ ; -- Begin function _Z18warp_reduce_kernelIfLj37ELj37EENSt9enable_ifIXntsr10test_utilsE35device_test_enabled_for_warp_size_vIXT1_EEEvE4typeEPT_S4_
	.globl	_Z18warp_reduce_kernelIfLj37ELj37EENSt9enable_ifIXntsr10test_utilsE35device_test_enabled_for_warp_size_vIXT1_EEEvE4typeEPT_S4_
	.p2align	8
	.type	_Z18warp_reduce_kernelIfLj37ELj37EENSt9enable_ifIXntsr10test_utilsE35device_test_enabled_for_warp_size_vIXT1_EEEvE4typeEPT_S4_,@function
_Z18warp_reduce_kernelIfLj37ELj37EENSt9enable_ifIXntsr10test_utilsE35device_test_enabled_for_warp_size_vIXT1_EEEvE4typeEPT_S4_: ; @_Z18warp_reduce_kernelIfLj37ELj37EENSt9enable_ifIXntsr10test_utilsE35device_test_enabled_for_warp_size_vIXT1_EEEvE4typeEPT_S4_
; %bb.0:
	s_endpgm
	.section	.rodata,"a",@progbits
	.p2align	6, 0x0
	.amdhsa_kernel _Z18warp_reduce_kernelIfLj37ELj37EENSt9enable_ifIXntsr10test_utilsE35device_test_enabled_for_warp_size_vIXT1_EEEvE4typeEPT_S4_
		.amdhsa_group_segment_fixed_size 0
		.amdhsa_private_segment_fixed_size 0
		.amdhsa_kernarg_size 16
		.amdhsa_user_sgpr_count 15
		.amdhsa_user_sgpr_dispatch_ptr 0
		.amdhsa_user_sgpr_queue_ptr 0
		.amdhsa_user_sgpr_kernarg_segment_ptr 1
		.amdhsa_user_sgpr_dispatch_id 0
		.amdhsa_user_sgpr_private_segment_size 0
		.amdhsa_wavefront_size32 1
		.amdhsa_uses_dynamic_stack 0
		.amdhsa_enable_private_segment 0
		.amdhsa_system_sgpr_workgroup_id_x 1
		.amdhsa_system_sgpr_workgroup_id_y 0
		.amdhsa_system_sgpr_workgroup_id_z 0
		.amdhsa_system_sgpr_workgroup_info 0
		.amdhsa_system_vgpr_workitem_id 0
		.amdhsa_next_free_vgpr 1
		.amdhsa_next_free_sgpr 1
		.amdhsa_reserve_vcc 0
		.amdhsa_float_round_mode_32 0
		.amdhsa_float_round_mode_16_64 0
		.amdhsa_float_denorm_mode_32 3
		.amdhsa_float_denorm_mode_16_64 3
		.amdhsa_dx10_clamp 1
		.amdhsa_ieee_mode 1
		.amdhsa_fp16_overflow 0
		.amdhsa_workgroup_processor_mode 1
		.amdhsa_memory_ordered 1
		.amdhsa_forward_progress 0
		.amdhsa_shared_vgpr_count 0
		.amdhsa_exception_fp_ieee_invalid_op 0
		.amdhsa_exception_fp_denorm_src 0
		.amdhsa_exception_fp_ieee_div_zero 0
		.amdhsa_exception_fp_ieee_overflow 0
		.amdhsa_exception_fp_ieee_underflow 0
		.amdhsa_exception_fp_ieee_inexact 0
		.amdhsa_exception_int_div_zero 0
	.end_amdhsa_kernel
	.section	.text._Z18warp_reduce_kernelIfLj37ELj37EENSt9enable_ifIXntsr10test_utilsE35device_test_enabled_for_warp_size_vIXT1_EEEvE4typeEPT_S4_,"axG",@progbits,_Z18warp_reduce_kernelIfLj37ELj37EENSt9enable_ifIXntsr10test_utilsE35device_test_enabled_for_warp_size_vIXT1_EEEvE4typeEPT_S4_,comdat
.Lfunc_end3:
	.size	_Z18warp_reduce_kernelIfLj37ELj37EENSt9enable_ifIXntsr10test_utilsE35device_test_enabled_for_warp_size_vIXT1_EEEvE4typeEPT_S4_, .Lfunc_end3-_Z18warp_reduce_kernelIfLj37ELj37EENSt9enable_ifIXntsr10test_utilsE35device_test_enabled_for_warp_size_vIXT1_EEEvE4typeEPT_S4_
                                        ; -- End function
	.section	.AMDGPU.csdata,"",@progbits
; Kernel info:
; codeLenInByte = 4
; NumSgprs: 0
; NumVgprs: 0
; ScratchSize: 0
; MemoryBound: 0
; FloatMode: 240
; IeeeMode: 1
; LDSByteSize: 0 bytes/workgroup (compile time only)
; SGPRBlocks: 0
; VGPRBlocks: 0
; NumSGPRsForWavesPerEU: 1
; NumVGPRsForWavesPerEU: 1
; Occupancy: 16
; WaveLimiterHint : 0
; COMPUTE_PGM_RSRC2:SCRATCH_EN: 0
; COMPUTE_PGM_RSRC2:USER_SGPR: 15
; COMPUTE_PGM_RSRC2:TRAP_HANDLER: 0
; COMPUTE_PGM_RSRC2:TGID_X_EN: 1
; COMPUTE_PGM_RSRC2:TGID_Y_EN: 0
; COMPUTE_PGM_RSRC2:TGID_Z_EN: 0
; COMPUTE_PGM_RSRC2:TIDIG_COMP_CNT: 0
	.section	.text._Z18warp_reduce_kernelIfLj30ELj15EENSt9enable_ifIXsr10test_utilsE35device_test_enabled_for_warp_size_vIXT1_EEEvE4typeEPT_S4_,"axG",@progbits,_Z18warp_reduce_kernelIfLj30ELj15EENSt9enable_ifIXsr10test_utilsE35device_test_enabled_for_warp_size_vIXT1_EEEvE4typeEPT_S4_,comdat
	.protected	_Z18warp_reduce_kernelIfLj30ELj15EENSt9enable_ifIXsr10test_utilsE35device_test_enabled_for_warp_size_vIXT1_EEEvE4typeEPT_S4_ ; -- Begin function _Z18warp_reduce_kernelIfLj30ELj15EENSt9enable_ifIXsr10test_utilsE35device_test_enabled_for_warp_size_vIXT1_EEEvE4typeEPT_S4_
	.globl	_Z18warp_reduce_kernelIfLj30ELj15EENSt9enable_ifIXsr10test_utilsE35device_test_enabled_for_warp_size_vIXT1_EEEvE4typeEPT_S4_
	.p2align	8
	.type	_Z18warp_reduce_kernelIfLj30ELj15EENSt9enable_ifIXsr10test_utilsE35device_test_enabled_for_warp_size_vIXT1_EEEvE4typeEPT_S4_,@function
_Z18warp_reduce_kernelIfLj30ELj15EENSt9enable_ifIXsr10test_utilsE35device_test_enabled_for_warp_size_vIXT1_EEEvE4typeEPT_S4_: ; @_Z18warp_reduce_kernelIfLj30ELj15EENSt9enable_ifIXsr10test_utilsE35device_test_enabled_for_warp_size_vIXT1_EEEvE4typeEPT_S4_
; %bb.0:
	s_clause 0x1
	s_load_b32 s4, s[0:1], 0x1c
	s_load_b128 s[0:3], s[0:1], 0x0
	v_mul_u32_u24_e32 v6, 0x1112, v0
	s_waitcnt lgkmcnt(0)
	s_and_b32 s4, s4, 0xffff
	s_delay_alu instid0(SALU_CYCLE_1) | instskip(SKIP_1) | instid1(VALU_DEP_1)
	v_mad_u64_u32 v[1:2], null, s15, s4, v[0:1]
	v_mov_b32_e32 v2, 0
	v_lshlrev_b64 v[2:3], 2, v[1:2]
	s_delay_alu instid0(VALU_DEP_1) | instskip(NEXT) | instid1(VALU_DEP_2)
	v_add_co_u32 v2, vcc_lo, s0, v2
	v_add_co_ci_u32_e32 v3, vcc_lo, s1, v3, vcc_lo
	global_load_b32 v2, v[2:3], off
	v_mbcnt_lo_u32_b32 v3, -1, 0
	s_delay_alu instid0(VALU_DEP_1) | instskip(NEXT) | instid1(VALU_DEP_1)
	v_mul_hi_u32 v4, 0x11111112, v3
	v_mul_u32_u24_e32 v4, 15, v4
	s_delay_alu instid0(VALU_DEP_1) | instskip(SKIP_1) | instid1(VALU_DEP_2)
	v_sub_nc_u32_e32 v5, v3, v4
	v_lshrrev_b32_e32 v3, 16, v6
	v_lshlrev_b32_e32 v4, 2, v5
	v_cmp_gt_u32_e32 vcc_lo, 7, v5
	s_delay_alu instid0(VALU_DEP_2)
	v_mad_u32_u24 v4, v3, 60, v4
	s_waitcnt vmcnt(0)
	ds_store_b32 v4, v2
	; wave barrier
	s_and_saveexec_b32 s0, vcc_lo
	s_cbranch_execz .LBB4_2
; %bb.1:
	ds_load_2addr_b32 v[6:7], v4 offset1:8
	s_waitcnt lgkmcnt(0)
	v_add_f32_e32 v2, v6, v7
.LBB4_2:
	s_or_b32 exec_lo, exec_lo, s0
	; wave barrier
	s_and_saveexec_b32 s0, vcc_lo
	s_cbranch_execz .LBB4_4
; %bb.3:
	ds_store_b32 v4, v2
.LBB4_4:
	s_or_b32 exec_lo, exec_lo, s0
	v_cmp_gt_u32_e32 vcc_lo, 4, v5
	; wave barrier
	s_and_saveexec_b32 s0, vcc_lo
	s_cbranch_execz .LBB4_6
; %bb.5:
	ds_load_2addr_b32 v[6:7], v4 offset1:4
	s_waitcnt lgkmcnt(0)
	v_add_f32_e32 v2, v6, v7
.LBB4_6:
	s_or_b32 exec_lo, exec_lo, s0
	; wave barrier
	s_and_saveexec_b32 s0, vcc_lo
	s_cbranch_execz .LBB4_8
; %bb.7:
	ds_store_b32 v4, v2
.LBB4_8:
	s_or_b32 exec_lo, exec_lo, s0
	v_cmp_gt_u32_e32 vcc_lo, 2, v5
	; wave barrier
	s_and_saveexec_b32 s0, vcc_lo
	s_cbranch_execz .LBB4_10
; %bb.9:
	ds_load_2addr_b32 v[6:7], v4 offset1:2
	s_waitcnt lgkmcnt(0)
	v_add_f32_e32 v2, v6, v7
.LBB4_10:
	s_or_b32 exec_lo, exec_lo, s0
	; wave barrier
	s_and_saveexec_b32 s0, vcc_lo
	s_cbranch_execz .LBB4_12
; %bb.11:
	ds_store_b32 v4, v2
.LBB4_12:
	s_or_b32 exec_lo, exec_lo, s0
	v_cmp_eq_u32_e32 vcc_lo, 0, v5
	; wave barrier
	s_and_saveexec_b32 s0, vcc_lo
	s_cbranch_execz .LBB4_14
; %bb.13:
	v_mul_u32_u24_e32 v2, 60, v3
	ds_load_b32 v5, v4
	ds_load_b32 v2, v2 offset:4
	s_waitcnt lgkmcnt(0)
	v_add_f32_e32 v2, v5, v2
.LBB4_14:
	s_or_b32 exec_lo, exec_lo, s0
	; wave barrier
	s_and_saveexec_b32 s0, vcc_lo
	s_cbranch_execz .LBB4_16
; %bb.15:
	ds_store_b32 v4, v2
.LBB4_16:
	s_or_b32 exec_lo, exec_lo, s0
	v_mul_lo_u16 v3, v3, 15
	; wave barrier
	s_mov_b32 s0, exec_lo
	s_delay_alu instid0(VALU_DEP_1) | instskip(NEXT) | instid1(VALU_DEP_1)
	v_sub_nc_u16 v0, v0, v3
	v_cmpx_eq_u16_e32 0, v0
	s_cbranch_execz .LBB4_18
; %bb.17:
	v_mul_hi_u32 v0, 0x88888889, v1
	s_delay_alu instid0(VALU_DEP_1) | instskip(NEXT) | instid1(VALU_DEP_1)
	v_lshrrev_b32_e32 v0, 1, v0
	v_and_b32_e32 v0, 0x7ffffffc, v0
	global_store_b32 v0, v2, s[2:3]
.LBB4_18:
	s_nop 0
	s_sendmsg sendmsg(MSG_DEALLOC_VGPRS)
	s_endpgm
	.section	.rodata,"a",@progbits
	.p2align	6, 0x0
	.amdhsa_kernel _Z18warp_reduce_kernelIfLj30ELj15EENSt9enable_ifIXsr10test_utilsE35device_test_enabled_for_warp_size_vIXT1_EEEvE4typeEPT_S4_
		.amdhsa_group_segment_fixed_size 120
		.amdhsa_private_segment_fixed_size 0
		.amdhsa_kernarg_size 272
		.amdhsa_user_sgpr_count 15
		.amdhsa_user_sgpr_dispatch_ptr 0
		.amdhsa_user_sgpr_queue_ptr 0
		.amdhsa_user_sgpr_kernarg_segment_ptr 1
		.amdhsa_user_sgpr_dispatch_id 0
		.amdhsa_user_sgpr_private_segment_size 0
		.amdhsa_wavefront_size32 1
		.amdhsa_uses_dynamic_stack 0
		.amdhsa_enable_private_segment 0
		.amdhsa_system_sgpr_workgroup_id_x 1
		.amdhsa_system_sgpr_workgroup_id_y 0
		.amdhsa_system_sgpr_workgroup_id_z 0
		.amdhsa_system_sgpr_workgroup_info 0
		.amdhsa_system_vgpr_workitem_id 0
		.amdhsa_next_free_vgpr 8
		.amdhsa_next_free_sgpr 16
		.amdhsa_reserve_vcc 1
		.amdhsa_float_round_mode_32 0
		.amdhsa_float_round_mode_16_64 0
		.amdhsa_float_denorm_mode_32 3
		.amdhsa_float_denorm_mode_16_64 3
		.amdhsa_dx10_clamp 1
		.amdhsa_ieee_mode 1
		.amdhsa_fp16_overflow 0
		.amdhsa_workgroup_processor_mode 1
		.amdhsa_memory_ordered 1
		.amdhsa_forward_progress 0
		.amdhsa_shared_vgpr_count 0
		.amdhsa_exception_fp_ieee_invalid_op 0
		.amdhsa_exception_fp_denorm_src 0
		.amdhsa_exception_fp_ieee_div_zero 0
		.amdhsa_exception_fp_ieee_overflow 0
		.amdhsa_exception_fp_ieee_underflow 0
		.amdhsa_exception_fp_ieee_inexact 0
		.amdhsa_exception_int_div_zero 0
	.end_amdhsa_kernel
	.section	.text._Z18warp_reduce_kernelIfLj30ELj15EENSt9enable_ifIXsr10test_utilsE35device_test_enabled_for_warp_size_vIXT1_EEEvE4typeEPT_S4_,"axG",@progbits,_Z18warp_reduce_kernelIfLj30ELj15EENSt9enable_ifIXsr10test_utilsE35device_test_enabled_for_warp_size_vIXT1_EEEvE4typeEPT_S4_,comdat
.Lfunc_end4:
	.size	_Z18warp_reduce_kernelIfLj30ELj15EENSt9enable_ifIXsr10test_utilsE35device_test_enabled_for_warp_size_vIXT1_EEEvE4typeEPT_S4_, .Lfunc_end4-_Z18warp_reduce_kernelIfLj30ELj15EENSt9enable_ifIXsr10test_utilsE35device_test_enabled_for_warp_size_vIXT1_EEEvE4typeEPT_S4_
                                        ; -- End function
	.section	.AMDGPU.csdata,"",@progbits
; Kernel info:
; codeLenInByte = 456
; NumSgprs: 18
; NumVgprs: 8
; ScratchSize: 0
; MemoryBound: 0
; FloatMode: 240
; IeeeMode: 1
; LDSByteSize: 120 bytes/workgroup (compile time only)
; SGPRBlocks: 2
; VGPRBlocks: 0
; NumSGPRsForWavesPerEU: 18
; NumVGPRsForWavesPerEU: 8
; Occupancy: 16
; WaveLimiterHint : 0
; COMPUTE_PGM_RSRC2:SCRATCH_EN: 0
; COMPUTE_PGM_RSRC2:USER_SGPR: 15
; COMPUTE_PGM_RSRC2:TRAP_HANDLER: 0
; COMPUTE_PGM_RSRC2:TGID_X_EN: 1
; COMPUTE_PGM_RSRC2:TGID_Y_EN: 0
; COMPUTE_PGM_RSRC2:TGID_Z_EN: 0
; COMPUTE_PGM_RSRC2:TIDIG_COMP_CNT: 0
	.section	.text._Z18warp_reduce_kernelIfLj60ELj15EENSt9enable_ifIXsr10test_utilsE35device_test_enabled_for_warp_size_vIXT1_EEEvE4typeEPT_S4_,"axG",@progbits,_Z18warp_reduce_kernelIfLj60ELj15EENSt9enable_ifIXsr10test_utilsE35device_test_enabled_for_warp_size_vIXT1_EEEvE4typeEPT_S4_,comdat
	.protected	_Z18warp_reduce_kernelIfLj60ELj15EENSt9enable_ifIXsr10test_utilsE35device_test_enabled_for_warp_size_vIXT1_EEEvE4typeEPT_S4_ ; -- Begin function _Z18warp_reduce_kernelIfLj60ELj15EENSt9enable_ifIXsr10test_utilsE35device_test_enabled_for_warp_size_vIXT1_EEEvE4typeEPT_S4_
	.globl	_Z18warp_reduce_kernelIfLj60ELj15EENSt9enable_ifIXsr10test_utilsE35device_test_enabled_for_warp_size_vIXT1_EEEvE4typeEPT_S4_
	.p2align	8
	.type	_Z18warp_reduce_kernelIfLj60ELj15EENSt9enable_ifIXsr10test_utilsE35device_test_enabled_for_warp_size_vIXT1_EEEvE4typeEPT_S4_,@function
_Z18warp_reduce_kernelIfLj60ELj15EENSt9enable_ifIXsr10test_utilsE35device_test_enabled_for_warp_size_vIXT1_EEEvE4typeEPT_S4_: ; @_Z18warp_reduce_kernelIfLj60ELj15EENSt9enable_ifIXsr10test_utilsE35device_test_enabled_for_warp_size_vIXT1_EEEvE4typeEPT_S4_
; %bb.0:
	s_clause 0x1
	s_load_b32 s4, s[0:1], 0x1c
	s_load_b128 s[0:3], s[0:1], 0x0
	v_mul_u32_u24_e32 v6, 0x1112, v0
	s_waitcnt lgkmcnt(0)
	s_and_b32 s4, s4, 0xffff
	s_delay_alu instid0(SALU_CYCLE_1) | instskip(SKIP_1) | instid1(VALU_DEP_1)
	v_mad_u64_u32 v[1:2], null, s15, s4, v[0:1]
	v_mov_b32_e32 v2, 0
	v_lshlrev_b64 v[2:3], 2, v[1:2]
	s_delay_alu instid0(VALU_DEP_1) | instskip(NEXT) | instid1(VALU_DEP_2)
	v_add_co_u32 v2, vcc_lo, s0, v2
	v_add_co_ci_u32_e32 v3, vcc_lo, s1, v3, vcc_lo
	global_load_b32 v2, v[2:3], off
	v_mbcnt_lo_u32_b32 v3, -1, 0
	s_delay_alu instid0(VALU_DEP_1) | instskip(NEXT) | instid1(VALU_DEP_1)
	v_mul_hi_u32 v4, 0x11111112, v3
	v_mul_u32_u24_e32 v4, 15, v4
	s_delay_alu instid0(VALU_DEP_1) | instskip(SKIP_1) | instid1(VALU_DEP_2)
	v_sub_nc_u32_e32 v5, v3, v4
	v_lshrrev_b32_e32 v3, 16, v6
	v_lshlrev_b32_e32 v4, 2, v5
	v_cmp_gt_u32_e32 vcc_lo, 7, v5
	s_delay_alu instid0(VALU_DEP_2)
	v_mad_u32_u24 v4, v3, 60, v4
	s_waitcnt vmcnt(0)
	ds_store_b32 v4, v2
	; wave barrier
	s_and_saveexec_b32 s0, vcc_lo
	s_cbranch_execz .LBB5_2
; %bb.1:
	ds_load_2addr_b32 v[6:7], v4 offset1:8
	s_waitcnt lgkmcnt(0)
	v_add_f32_e32 v2, v6, v7
.LBB5_2:
	s_or_b32 exec_lo, exec_lo, s0
	; wave barrier
	s_and_saveexec_b32 s0, vcc_lo
	s_cbranch_execz .LBB5_4
; %bb.3:
	ds_store_b32 v4, v2
.LBB5_4:
	s_or_b32 exec_lo, exec_lo, s0
	v_cmp_gt_u32_e32 vcc_lo, 4, v5
	; wave barrier
	s_and_saveexec_b32 s0, vcc_lo
	s_cbranch_execz .LBB5_6
; %bb.5:
	ds_load_2addr_b32 v[6:7], v4 offset1:4
	s_waitcnt lgkmcnt(0)
	v_add_f32_e32 v2, v6, v7
.LBB5_6:
	s_or_b32 exec_lo, exec_lo, s0
	; wave barrier
	s_and_saveexec_b32 s0, vcc_lo
	s_cbranch_execz .LBB5_8
; %bb.7:
	ds_store_b32 v4, v2
.LBB5_8:
	s_or_b32 exec_lo, exec_lo, s0
	v_cmp_gt_u32_e32 vcc_lo, 2, v5
	; wave barrier
	s_and_saveexec_b32 s0, vcc_lo
	s_cbranch_execz .LBB5_10
; %bb.9:
	ds_load_2addr_b32 v[6:7], v4 offset1:2
	s_waitcnt lgkmcnt(0)
	v_add_f32_e32 v2, v6, v7
.LBB5_10:
	s_or_b32 exec_lo, exec_lo, s0
	; wave barrier
	s_and_saveexec_b32 s0, vcc_lo
	s_cbranch_execz .LBB5_12
; %bb.11:
	ds_store_b32 v4, v2
.LBB5_12:
	s_or_b32 exec_lo, exec_lo, s0
	v_cmp_eq_u32_e32 vcc_lo, 0, v5
	; wave barrier
	s_and_saveexec_b32 s0, vcc_lo
	s_cbranch_execz .LBB5_14
; %bb.13:
	v_mul_u32_u24_e32 v2, 60, v3
	ds_load_b32 v5, v4
	ds_load_b32 v2, v2 offset:4
	s_waitcnt lgkmcnt(0)
	v_add_f32_e32 v2, v5, v2
.LBB5_14:
	s_or_b32 exec_lo, exec_lo, s0
	; wave barrier
	s_and_saveexec_b32 s0, vcc_lo
	s_cbranch_execz .LBB5_16
; %bb.15:
	ds_store_b32 v4, v2
.LBB5_16:
	s_or_b32 exec_lo, exec_lo, s0
	v_mul_lo_u16 v3, v3, 15
	; wave barrier
	s_mov_b32 s0, exec_lo
	s_delay_alu instid0(VALU_DEP_1) | instskip(NEXT) | instid1(VALU_DEP_1)
	v_sub_nc_u16 v0, v0, v3
	v_cmpx_eq_u16_e32 0, v0
	s_cbranch_execz .LBB5_18
; %bb.17:
	v_mul_hi_u32 v0, 0x88888889, v1
	s_delay_alu instid0(VALU_DEP_1) | instskip(NEXT) | instid1(VALU_DEP_1)
	v_lshrrev_b32_e32 v0, 1, v0
	v_and_b32_e32 v0, 0x7ffffffc, v0
	global_store_b32 v0, v2, s[2:3]
.LBB5_18:
	s_nop 0
	s_sendmsg sendmsg(MSG_DEALLOC_VGPRS)
	s_endpgm
	.section	.rodata,"a",@progbits
	.p2align	6, 0x0
	.amdhsa_kernel _Z18warp_reduce_kernelIfLj60ELj15EENSt9enable_ifIXsr10test_utilsE35device_test_enabled_for_warp_size_vIXT1_EEEvE4typeEPT_S4_
		.amdhsa_group_segment_fixed_size 240
		.amdhsa_private_segment_fixed_size 0
		.amdhsa_kernarg_size 272
		.amdhsa_user_sgpr_count 15
		.amdhsa_user_sgpr_dispatch_ptr 0
		.amdhsa_user_sgpr_queue_ptr 0
		.amdhsa_user_sgpr_kernarg_segment_ptr 1
		.amdhsa_user_sgpr_dispatch_id 0
		.amdhsa_user_sgpr_private_segment_size 0
		.amdhsa_wavefront_size32 1
		.amdhsa_uses_dynamic_stack 0
		.amdhsa_enable_private_segment 0
		.amdhsa_system_sgpr_workgroup_id_x 1
		.amdhsa_system_sgpr_workgroup_id_y 0
		.amdhsa_system_sgpr_workgroup_id_z 0
		.amdhsa_system_sgpr_workgroup_info 0
		.amdhsa_system_vgpr_workitem_id 0
		.amdhsa_next_free_vgpr 8
		.amdhsa_next_free_sgpr 16
		.amdhsa_reserve_vcc 1
		.amdhsa_float_round_mode_32 0
		.amdhsa_float_round_mode_16_64 0
		.amdhsa_float_denorm_mode_32 3
		.amdhsa_float_denorm_mode_16_64 3
		.amdhsa_dx10_clamp 1
		.amdhsa_ieee_mode 1
		.amdhsa_fp16_overflow 0
		.amdhsa_workgroup_processor_mode 1
		.amdhsa_memory_ordered 1
		.amdhsa_forward_progress 0
		.amdhsa_shared_vgpr_count 0
		.amdhsa_exception_fp_ieee_invalid_op 0
		.amdhsa_exception_fp_denorm_src 0
		.amdhsa_exception_fp_ieee_div_zero 0
		.amdhsa_exception_fp_ieee_overflow 0
		.amdhsa_exception_fp_ieee_underflow 0
		.amdhsa_exception_fp_ieee_inexact 0
		.amdhsa_exception_int_div_zero 0
	.end_amdhsa_kernel
	.section	.text._Z18warp_reduce_kernelIfLj60ELj15EENSt9enable_ifIXsr10test_utilsE35device_test_enabled_for_warp_size_vIXT1_EEEvE4typeEPT_S4_,"axG",@progbits,_Z18warp_reduce_kernelIfLj60ELj15EENSt9enable_ifIXsr10test_utilsE35device_test_enabled_for_warp_size_vIXT1_EEEvE4typeEPT_S4_,comdat
.Lfunc_end5:
	.size	_Z18warp_reduce_kernelIfLj60ELj15EENSt9enable_ifIXsr10test_utilsE35device_test_enabled_for_warp_size_vIXT1_EEEvE4typeEPT_S4_, .Lfunc_end5-_Z18warp_reduce_kernelIfLj60ELj15EENSt9enable_ifIXsr10test_utilsE35device_test_enabled_for_warp_size_vIXT1_EEEvE4typeEPT_S4_
                                        ; -- End function
	.section	.AMDGPU.csdata,"",@progbits
; Kernel info:
; codeLenInByte = 456
; NumSgprs: 18
; NumVgprs: 8
; ScratchSize: 0
; MemoryBound: 0
; FloatMode: 240
; IeeeMode: 1
; LDSByteSize: 240 bytes/workgroup (compile time only)
; SGPRBlocks: 2
; VGPRBlocks: 0
; NumSGPRsForWavesPerEU: 18
; NumVGPRsForWavesPerEU: 8
; Occupancy: 16
; WaveLimiterHint : 0
; COMPUTE_PGM_RSRC2:SCRATCH_EN: 0
; COMPUTE_PGM_RSRC2:USER_SGPR: 15
; COMPUTE_PGM_RSRC2:TRAP_HANDLER: 0
; COMPUTE_PGM_RSRC2:TGID_X_EN: 1
; COMPUTE_PGM_RSRC2:TGID_Y_EN: 0
; COMPUTE_PGM_RSRC2:TGID_Z_EN: 0
; COMPUTE_PGM_RSRC2:TIDIG_COMP_CNT: 0
	.section	.text._Z18warp_reduce_kernelIfLj28ELj7EENSt9enable_ifIXsr10test_utilsE35device_test_enabled_for_warp_size_vIXT1_EEEvE4typeEPT_S4_,"axG",@progbits,_Z18warp_reduce_kernelIfLj28ELj7EENSt9enable_ifIXsr10test_utilsE35device_test_enabled_for_warp_size_vIXT1_EEEvE4typeEPT_S4_,comdat
	.protected	_Z18warp_reduce_kernelIfLj28ELj7EENSt9enable_ifIXsr10test_utilsE35device_test_enabled_for_warp_size_vIXT1_EEEvE4typeEPT_S4_ ; -- Begin function _Z18warp_reduce_kernelIfLj28ELj7EENSt9enable_ifIXsr10test_utilsE35device_test_enabled_for_warp_size_vIXT1_EEEvE4typeEPT_S4_
	.globl	_Z18warp_reduce_kernelIfLj28ELj7EENSt9enable_ifIXsr10test_utilsE35device_test_enabled_for_warp_size_vIXT1_EEEvE4typeEPT_S4_
	.p2align	8
	.type	_Z18warp_reduce_kernelIfLj28ELj7EENSt9enable_ifIXsr10test_utilsE35device_test_enabled_for_warp_size_vIXT1_EEEvE4typeEPT_S4_,@function
_Z18warp_reduce_kernelIfLj28ELj7EENSt9enable_ifIXsr10test_utilsE35device_test_enabled_for_warp_size_vIXT1_EEEvE4typeEPT_S4_: ; @_Z18warp_reduce_kernelIfLj28ELj7EENSt9enable_ifIXsr10test_utilsE35device_test_enabled_for_warp_size_vIXT1_EEEvE4typeEPT_S4_
; %bb.0:
	s_clause 0x1
	s_load_b32 s4, s[0:1], 0x1c
	s_load_b128 s[0:3], s[0:1], 0x0
	v_mul_u32_u24_e32 v6, 0x2493, v0
	s_waitcnt lgkmcnt(0)
	s_and_b32 s4, s4, 0xffff
	s_delay_alu instid0(SALU_CYCLE_1) | instskip(SKIP_1) | instid1(VALU_DEP_1)
	v_mad_u64_u32 v[1:2], null, s15, s4, v[0:1]
	v_mov_b32_e32 v2, 0
	v_lshlrev_b64 v[2:3], 2, v[1:2]
	s_delay_alu instid0(VALU_DEP_1) | instskip(NEXT) | instid1(VALU_DEP_2)
	v_add_co_u32 v2, vcc_lo, s0, v2
	v_add_co_ci_u32_e32 v3, vcc_lo, s1, v3, vcc_lo
	global_load_b32 v2, v[2:3], off
	v_mbcnt_lo_u32_b32 v3, -1, 0
	s_delay_alu instid0(VALU_DEP_1) | instskip(NEXT) | instid1(VALU_DEP_1)
	v_mul_hi_u32 v4, 0x24924925, v3
	v_mul_u32_u24_e32 v4, 7, v4
	s_delay_alu instid0(VALU_DEP_1) | instskip(SKIP_1) | instid1(VALU_DEP_2)
	v_sub_nc_u32_e32 v5, v3, v4
	v_lshrrev_b32_e32 v3, 16, v6
	v_lshlrev_b32_e32 v4, 2, v5
	v_cmp_gt_u32_e32 vcc_lo, 3, v5
	s_delay_alu instid0(VALU_DEP_2)
	v_mad_u32_u24 v4, v3, 28, v4
	s_waitcnt vmcnt(0)
	ds_store_b32 v4, v2
	; wave barrier
	s_and_saveexec_b32 s0, vcc_lo
	s_cbranch_execz .LBB6_2
; %bb.1:
	ds_load_2addr_b32 v[6:7], v4 offset1:4
	s_waitcnt lgkmcnt(0)
	v_add_f32_e32 v2, v6, v7
.LBB6_2:
	s_or_b32 exec_lo, exec_lo, s0
	; wave barrier
	s_and_saveexec_b32 s0, vcc_lo
	s_cbranch_execz .LBB6_4
; %bb.3:
	ds_store_b32 v4, v2
.LBB6_4:
	s_or_b32 exec_lo, exec_lo, s0
	v_cmp_gt_u32_e32 vcc_lo, 2, v5
	; wave barrier
	s_and_saveexec_b32 s0, vcc_lo
	s_cbranch_execz .LBB6_6
; %bb.5:
	ds_load_2addr_b32 v[6:7], v4 offset1:2
	s_waitcnt lgkmcnt(0)
	v_add_f32_e32 v2, v6, v7
.LBB6_6:
	s_or_b32 exec_lo, exec_lo, s0
	; wave barrier
	s_and_saveexec_b32 s0, vcc_lo
	s_cbranch_execz .LBB6_8
; %bb.7:
	ds_store_b32 v4, v2
.LBB6_8:
	s_or_b32 exec_lo, exec_lo, s0
	v_cmp_eq_u32_e32 vcc_lo, 0, v5
	; wave barrier
	s_and_saveexec_b32 s0, vcc_lo
	s_cbranch_execz .LBB6_10
; %bb.9:
	v_mul_u32_u24_e32 v2, 28, v3
	ds_load_b32 v5, v4
	ds_load_b32 v2, v2 offset:4
	s_waitcnt lgkmcnt(0)
	v_add_f32_e32 v2, v5, v2
.LBB6_10:
	s_or_b32 exec_lo, exec_lo, s0
	; wave barrier
	s_and_saveexec_b32 s0, vcc_lo
	s_cbranch_execz .LBB6_12
; %bb.11:
	ds_store_b32 v4, v2
.LBB6_12:
	s_or_b32 exec_lo, exec_lo, s0
	v_mul_lo_u16 v3, v3, 7
	; wave barrier
	s_mov_b32 s0, exec_lo
	s_delay_alu instid0(VALU_DEP_1) | instskip(NEXT) | instid1(VALU_DEP_1)
	v_sub_nc_u16 v0, v0, v3
	v_cmpx_eq_u16_e32 0, v0
	s_cbranch_execz .LBB6_14
; %bb.13:
	v_mul_hi_u32 v0, 0x24924925, v1
	s_delay_alu instid0(VALU_DEP_1) | instskip(NEXT) | instid1(VALU_DEP_1)
	v_sub_nc_u32_e32 v1, v1, v0
	v_lshrrev_b32_e32 v1, 1, v1
	s_delay_alu instid0(VALU_DEP_1) | instskip(NEXT) | instid1(VALU_DEP_1)
	v_add_nc_u32_e32 v0, v1, v0
	v_and_b32_e32 v0, -4, v0
	global_store_b32 v0, v2, s[2:3]
.LBB6_14:
	s_nop 0
	s_sendmsg sendmsg(MSG_DEALLOC_VGPRS)
	s_endpgm
	.section	.rodata,"a",@progbits
	.p2align	6, 0x0
	.amdhsa_kernel _Z18warp_reduce_kernelIfLj28ELj7EENSt9enable_ifIXsr10test_utilsE35device_test_enabled_for_warp_size_vIXT1_EEEvE4typeEPT_S4_
		.amdhsa_group_segment_fixed_size 112
		.amdhsa_private_segment_fixed_size 0
		.amdhsa_kernarg_size 272
		.amdhsa_user_sgpr_count 15
		.amdhsa_user_sgpr_dispatch_ptr 0
		.amdhsa_user_sgpr_queue_ptr 0
		.amdhsa_user_sgpr_kernarg_segment_ptr 1
		.amdhsa_user_sgpr_dispatch_id 0
		.amdhsa_user_sgpr_private_segment_size 0
		.amdhsa_wavefront_size32 1
		.amdhsa_uses_dynamic_stack 0
		.amdhsa_enable_private_segment 0
		.amdhsa_system_sgpr_workgroup_id_x 1
		.amdhsa_system_sgpr_workgroup_id_y 0
		.amdhsa_system_sgpr_workgroup_id_z 0
		.amdhsa_system_sgpr_workgroup_info 0
		.amdhsa_system_vgpr_workitem_id 0
		.amdhsa_next_free_vgpr 8
		.amdhsa_next_free_sgpr 16
		.amdhsa_reserve_vcc 1
		.amdhsa_float_round_mode_32 0
		.amdhsa_float_round_mode_16_64 0
		.amdhsa_float_denorm_mode_32 3
		.amdhsa_float_denorm_mode_16_64 3
		.amdhsa_dx10_clamp 1
		.amdhsa_ieee_mode 1
		.amdhsa_fp16_overflow 0
		.amdhsa_workgroup_processor_mode 1
		.amdhsa_memory_ordered 1
		.amdhsa_forward_progress 0
		.amdhsa_shared_vgpr_count 0
		.amdhsa_exception_fp_ieee_invalid_op 0
		.amdhsa_exception_fp_denorm_src 0
		.amdhsa_exception_fp_ieee_div_zero 0
		.amdhsa_exception_fp_ieee_overflow 0
		.amdhsa_exception_fp_ieee_underflow 0
		.amdhsa_exception_fp_ieee_inexact 0
		.amdhsa_exception_int_div_zero 0
	.end_amdhsa_kernel
	.section	.text._Z18warp_reduce_kernelIfLj28ELj7EENSt9enable_ifIXsr10test_utilsE35device_test_enabled_for_warp_size_vIXT1_EEEvE4typeEPT_S4_,"axG",@progbits,_Z18warp_reduce_kernelIfLj28ELj7EENSt9enable_ifIXsr10test_utilsE35device_test_enabled_for_warp_size_vIXT1_EEEvE4typeEPT_S4_,comdat
.Lfunc_end6:
	.size	_Z18warp_reduce_kernelIfLj28ELj7EENSt9enable_ifIXsr10test_utilsE35device_test_enabled_for_warp_size_vIXT1_EEEvE4typeEPT_S4_, .Lfunc_end6-_Z18warp_reduce_kernelIfLj28ELj7EENSt9enable_ifIXsr10test_utilsE35device_test_enabled_for_warp_size_vIXT1_EEEvE4typeEPT_S4_
                                        ; -- End function
	.section	.AMDGPU.csdata,"",@progbits
; Kernel info:
; codeLenInByte = 412
; NumSgprs: 18
; NumVgprs: 8
; ScratchSize: 0
; MemoryBound: 0
; FloatMode: 240
; IeeeMode: 1
; LDSByteSize: 112 bytes/workgroup (compile time only)
; SGPRBlocks: 2
; VGPRBlocks: 0
; NumSGPRsForWavesPerEU: 18
; NumVGPRsForWavesPerEU: 8
; Occupancy: 16
; WaveLimiterHint : 0
; COMPUTE_PGM_RSRC2:SCRATCH_EN: 0
; COMPUTE_PGM_RSRC2:USER_SGPR: 15
; COMPUTE_PGM_RSRC2:TRAP_HANDLER: 0
; COMPUTE_PGM_RSRC2:TGID_X_EN: 1
; COMPUTE_PGM_RSRC2:TGID_Y_EN: 0
; COMPUTE_PGM_RSRC2:TGID_Z_EN: 0
; COMPUTE_PGM_RSRC2:TIDIG_COMP_CNT: 0
	.section	.text._Z18warp_reduce_kernelIfLj63ELj7EENSt9enable_ifIXsr10test_utilsE35device_test_enabled_for_warp_size_vIXT1_EEEvE4typeEPT_S4_,"axG",@progbits,_Z18warp_reduce_kernelIfLj63ELj7EENSt9enable_ifIXsr10test_utilsE35device_test_enabled_for_warp_size_vIXT1_EEEvE4typeEPT_S4_,comdat
	.protected	_Z18warp_reduce_kernelIfLj63ELj7EENSt9enable_ifIXsr10test_utilsE35device_test_enabled_for_warp_size_vIXT1_EEEvE4typeEPT_S4_ ; -- Begin function _Z18warp_reduce_kernelIfLj63ELj7EENSt9enable_ifIXsr10test_utilsE35device_test_enabled_for_warp_size_vIXT1_EEEvE4typeEPT_S4_
	.globl	_Z18warp_reduce_kernelIfLj63ELj7EENSt9enable_ifIXsr10test_utilsE35device_test_enabled_for_warp_size_vIXT1_EEEvE4typeEPT_S4_
	.p2align	8
	.type	_Z18warp_reduce_kernelIfLj63ELj7EENSt9enable_ifIXsr10test_utilsE35device_test_enabled_for_warp_size_vIXT1_EEEvE4typeEPT_S4_,@function
_Z18warp_reduce_kernelIfLj63ELj7EENSt9enable_ifIXsr10test_utilsE35device_test_enabled_for_warp_size_vIXT1_EEEvE4typeEPT_S4_: ; @_Z18warp_reduce_kernelIfLj63ELj7EENSt9enable_ifIXsr10test_utilsE35device_test_enabled_for_warp_size_vIXT1_EEEvE4typeEPT_S4_
; %bb.0:
	s_clause 0x1
	s_load_b32 s4, s[0:1], 0x1c
	s_load_b128 s[0:3], s[0:1], 0x0
	v_mul_u32_u24_e32 v6, 0x2493, v0
	s_waitcnt lgkmcnt(0)
	s_and_b32 s4, s4, 0xffff
	s_delay_alu instid0(SALU_CYCLE_1) | instskip(SKIP_1) | instid1(VALU_DEP_1)
	v_mad_u64_u32 v[1:2], null, s15, s4, v[0:1]
	v_mov_b32_e32 v2, 0
	v_lshlrev_b64 v[2:3], 2, v[1:2]
	s_delay_alu instid0(VALU_DEP_1) | instskip(NEXT) | instid1(VALU_DEP_2)
	v_add_co_u32 v2, vcc_lo, s0, v2
	v_add_co_ci_u32_e32 v3, vcc_lo, s1, v3, vcc_lo
	global_load_b32 v2, v[2:3], off
	v_mbcnt_lo_u32_b32 v3, -1, 0
	s_delay_alu instid0(VALU_DEP_1) | instskip(NEXT) | instid1(VALU_DEP_1)
	v_mul_hi_u32 v4, 0x24924925, v3
	v_mul_u32_u24_e32 v4, 7, v4
	s_delay_alu instid0(VALU_DEP_1) | instskip(SKIP_1) | instid1(VALU_DEP_2)
	v_sub_nc_u32_e32 v5, v3, v4
	v_lshrrev_b32_e32 v3, 16, v6
	v_lshlrev_b32_e32 v4, 2, v5
	v_cmp_gt_u32_e32 vcc_lo, 3, v5
	s_delay_alu instid0(VALU_DEP_2)
	v_mad_u32_u24 v4, v3, 28, v4
	s_waitcnt vmcnt(0)
	ds_store_b32 v4, v2
	; wave barrier
	s_and_saveexec_b32 s0, vcc_lo
	s_cbranch_execz .LBB7_2
; %bb.1:
	ds_load_2addr_b32 v[6:7], v4 offset1:4
	s_waitcnt lgkmcnt(0)
	v_add_f32_e32 v2, v6, v7
.LBB7_2:
	s_or_b32 exec_lo, exec_lo, s0
	; wave barrier
	s_and_saveexec_b32 s0, vcc_lo
	s_cbranch_execz .LBB7_4
; %bb.3:
	ds_store_b32 v4, v2
.LBB7_4:
	s_or_b32 exec_lo, exec_lo, s0
	v_cmp_gt_u32_e32 vcc_lo, 2, v5
	; wave barrier
	s_and_saveexec_b32 s0, vcc_lo
	s_cbranch_execz .LBB7_6
; %bb.5:
	ds_load_2addr_b32 v[6:7], v4 offset1:2
	s_waitcnt lgkmcnt(0)
	v_add_f32_e32 v2, v6, v7
.LBB7_6:
	s_or_b32 exec_lo, exec_lo, s0
	; wave barrier
	s_and_saveexec_b32 s0, vcc_lo
	s_cbranch_execz .LBB7_8
; %bb.7:
	ds_store_b32 v4, v2
.LBB7_8:
	s_or_b32 exec_lo, exec_lo, s0
	v_cmp_eq_u32_e32 vcc_lo, 0, v5
	; wave barrier
	s_and_saveexec_b32 s0, vcc_lo
	s_cbranch_execz .LBB7_10
; %bb.9:
	v_mul_u32_u24_e32 v2, 28, v3
	ds_load_b32 v5, v4
	ds_load_b32 v2, v2 offset:4
	s_waitcnt lgkmcnt(0)
	v_add_f32_e32 v2, v5, v2
.LBB7_10:
	s_or_b32 exec_lo, exec_lo, s0
	; wave barrier
	s_and_saveexec_b32 s0, vcc_lo
	s_cbranch_execz .LBB7_12
; %bb.11:
	ds_store_b32 v4, v2
.LBB7_12:
	s_or_b32 exec_lo, exec_lo, s0
	v_mul_lo_u16 v3, v3, 7
	; wave barrier
	s_mov_b32 s0, exec_lo
	s_delay_alu instid0(VALU_DEP_1) | instskip(NEXT) | instid1(VALU_DEP_1)
	v_sub_nc_u16 v0, v0, v3
	v_cmpx_eq_u16_e32 0, v0
	s_cbranch_execz .LBB7_14
; %bb.13:
	v_mul_hi_u32 v0, 0x24924925, v1
	s_delay_alu instid0(VALU_DEP_1) | instskip(NEXT) | instid1(VALU_DEP_1)
	v_sub_nc_u32_e32 v1, v1, v0
	v_lshrrev_b32_e32 v1, 1, v1
	s_delay_alu instid0(VALU_DEP_1) | instskip(NEXT) | instid1(VALU_DEP_1)
	v_add_nc_u32_e32 v0, v1, v0
	v_and_b32_e32 v0, -4, v0
	global_store_b32 v0, v2, s[2:3]
.LBB7_14:
	s_nop 0
	s_sendmsg sendmsg(MSG_DEALLOC_VGPRS)
	s_endpgm
	.section	.rodata,"a",@progbits
	.p2align	6, 0x0
	.amdhsa_kernel _Z18warp_reduce_kernelIfLj63ELj7EENSt9enable_ifIXsr10test_utilsE35device_test_enabled_for_warp_size_vIXT1_EEEvE4typeEPT_S4_
		.amdhsa_group_segment_fixed_size 252
		.amdhsa_private_segment_fixed_size 0
		.amdhsa_kernarg_size 272
		.amdhsa_user_sgpr_count 15
		.amdhsa_user_sgpr_dispatch_ptr 0
		.amdhsa_user_sgpr_queue_ptr 0
		.amdhsa_user_sgpr_kernarg_segment_ptr 1
		.amdhsa_user_sgpr_dispatch_id 0
		.amdhsa_user_sgpr_private_segment_size 0
		.amdhsa_wavefront_size32 1
		.amdhsa_uses_dynamic_stack 0
		.amdhsa_enable_private_segment 0
		.amdhsa_system_sgpr_workgroup_id_x 1
		.amdhsa_system_sgpr_workgroup_id_y 0
		.amdhsa_system_sgpr_workgroup_id_z 0
		.amdhsa_system_sgpr_workgroup_info 0
		.amdhsa_system_vgpr_workitem_id 0
		.amdhsa_next_free_vgpr 8
		.amdhsa_next_free_sgpr 16
		.amdhsa_reserve_vcc 1
		.amdhsa_float_round_mode_32 0
		.amdhsa_float_round_mode_16_64 0
		.amdhsa_float_denorm_mode_32 3
		.amdhsa_float_denorm_mode_16_64 3
		.amdhsa_dx10_clamp 1
		.amdhsa_ieee_mode 1
		.amdhsa_fp16_overflow 0
		.amdhsa_workgroup_processor_mode 1
		.amdhsa_memory_ordered 1
		.amdhsa_forward_progress 0
		.amdhsa_shared_vgpr_count 0
		.amdhsa_exception_fp_ieee_invalid_op 0
		.amdhsa_exception_fp_denorm_src 0
		.amdhsa_exception_fp_ieee_div_zero 0
		.amdhsa_exception_fp_ieee_overflow 0
		.amdhsa_exception_fp_ieee_underflow 0
		.amdhsa_exception_fp_ieee_inexact 0
		.amdhsa_exception_int_div_zero 0
	.end_amdhsa_kernel
	.section	.text._Z18warp_reduce_kernelIfLj63ELj7EENSt9enable_ifIXsr10test_utilsE35device_test_enabled_for_warp_size_vIXT1_EEEvE4typeEPT_S4_,"axG",@progbits,_Z18warp_reduce_kernelIfLj63ELj7EENSt9enable_ifIXsr10test_utilsE35device_test_enabled_for_warp_size_vIXT1_EEEvE4typeEPT_S4_,comdat
.Lfunc_end7:
	.size	_Z18warp_reduce_kernelIfLj63ELj7EENSt9enable_ifIXsr10test_utilsE35device_test_enabled_for_warp_size_vIXT1_EEEvE4typeEPT_S4_, .Lfunc_end7-_Z18warp_reduce_kernelIfLj63ELj7EENSt9enable_ifIXsr10test_utilsE35device_test_enabled_for_warp_size_vIXT1_EEEvE4typeEPT_S4_
                                        ; -- End function
	.section	.AMDGPU.csdata,"",@progbits
; Kernel info:
; codeLenInByte = 412
; NumSgprs: 18
; NumVgprs: 8
; ScratchSize: 0
; MemoryBound: 0
; FloatMode: 240
; IeeeMode: 1
; LDSByteSize: 252 bytes/workgroup (compile time only)
; SGPRBlocks: 2
; VGPRBlocks: 0
; NumSGPRsForWavesPerEU: 18
; NumVGPRsForWavesPerEU: 8
; Occupancy: 16
; WaveLimiterHint : 0
; COMPUTE_PGM_RSRC2:SCRATCH_EN: 0
; COMPUTE_PGM_RSRC2:USER_SGPR: 15
; COMPUTE_PGM_RSRC2:TRAP_HANDLER: 0
; COMPUTE_PGM_RSRC2:TGID_X_EN: 1
; COMPUTE_PGM_RSRC2:TGID_Y_EN: 0
; COMPUTE_PGM_RSRC2:TGID_Z_EN: 0
; COMPUTE_PGM_RSRC2:TIDIG_COMP_CNT: 0
	.section	.text._Z18warp_reduce_kernelIfLj30ELj3EENSt9enable_ifIXsr10test_utilsE35device_test_enabled_for_warp_size_vIXT1_EEEvE4typeEPT_S4_,"axG",@progbits,_Z18warp_reduce_kernelIfLj30ELj3EENSt9enable_ifIXsr10test_utilsE35device_test_enabled_for_warp_size_vIXT1_EEEvE4typeEPT_S4_,comdat
	.protected	_Z18warp_reduce_kernelIfLj30ELj3EENSt9enable_ifIXsr10test_utilsE35device_test_enabled_for_warp_size_vIXT1_EEEvE4typeEPT_S4_ ; -- Begin function _Z18warp_reduce_kernelIfLj30ELj3EENSt9enable_ifIXsr10test_utilsE35device_test_enabled_for_warp_size_vIXT1_EEEvE4typeEPT_S4_
	.globl	_Z18warp_reduce_kernelIfLj30ELj3EENSt9enable_ifIXsr10test_utilsE35device_test_enabled_for_warp_size_vIXT1_EEEvE4typeEPT_S4_
	.p2align	8
	.type	_Z18warp_reduce_kernelIfLj30ELj3EENSt9enable_ifIXsr10test_utilsE35device_test_enabled_for_warp_size_vIXT1_EEEvE4typeEPT_S4_,@function
_Z18warp_reduce_kernelIfLj30ELj3EENSt9enable_ifIXsr10test_utilsE35device_test_enabled_for_warp_size_vIXT1_EEEvE4typeEPT_S4_: ; @_Z18warp_reduce_kernelIfLj30ELj3EENSt9enable_ifIXsr10test_utilsE35device_test_enabled_for_warp_size_vIXT1_EEEvE4typeEPT_S4_
; %bb.0:
	s_clause 0x1
	s_load_b32 s4, s[0:1], 0x1c
	s_load_b128 s[0:3], s[0:1], 0x0
	v_mul_u32_u24_e32 v5, 0x5556, v0
	s_waitcnt lgkmcnt(0)
	s_and_b32 s4, s4, 0xffff
	s_delay_alu instid0(SALU_CYCLE_1) | instskip(SKIP_1) | instid1(VALU_DEP_1)
	v_mad_u64_u32 v[1:2], null, s15, s4, v[0:1]
	v_mov_b32_e32 v2, 0
	v_lshlrev_b64 v[2:3], 2, v[1:2]
	s_delay_alu instid0(VALU_DEP_1) | instskip(NEXT) | instid1(VALU_DEP_2)
	v_add_co_u32 v2, vcc_lo, s0, v2
	v_add_co_ci_u32_e32 v3, vcc_lo, s1, v3, vcc_lo
	global_load_b32 v2, v[2:3], off
	v_mbcnt_lo_u32_b32 v3, -1, 0
	s_delay_alu instid0(VALU_DEP_1) | instskip(NEXT) | instid1(VALU_DEP_1)
	v_mul_hi_u32 v4, 0x55555556, v3
	v_mul_u32_u24_e32 v4, 3, v4
	s_delay_alu instid0(VALU_DEP_1) | instskip(SKIP_1) | instid1(VALU_DEP_2)
	v_sub_nc_u32_e32 v6, v3, v4
	v_lshrrev_b32_e32 v3, 16, v5
	v_lshlrev_b32_e32 v4, 2, v6
	s_delay_alu instid0(VALU_DEP_2) | instskip(SKIP_1) | instid1(VALU_DEP_3)
	v_mul_u32_u24_e32 v5, 12, v3
	v_cmp_eq_u32_e32 vcc_lo, 0, v6
	v_mad_u32_u24 v4, v3, 12, v4
	s_waitcnt vmcnt(0)
	ds_store_b32 v4, v2
	; wave barrier
	s_and_saveexec_b32 s0, vcc_lo
	s_cbranch_execz .LBB8_2
; %bb.1:
	ds_load_b32 v2, v4
	ds_load_b32 v6, v5 offset:8
	s_waitcnt lgkmcnt(0)
	v_add_f32_e32 v2, v2, v6
.LBB8_2:
	s_or_b32 exec_lo, exec_lo, s0
	; wave barrier
	s_and_saveexec_b32 s0, vcc_lo
	s_cbranch_execz .LBB8_4
; %bb.3:
	ds_store_b32 v4, v2
.LBB8_4:
	s_or_b32 exec_lo, exec_lo, s0
	; wave barrier
	s_and_saveexec_b32 s0, vcc_lo
	s_cbranch_execz .LBB8_6
; %bb.5:
	ds_load_b32 v2, v4
	ds_load_b32 v5, v5 offset:4
	s_waitcnt lgkmcnt(0)
	v_add_f32_e32 v2, v2, v5
.LBB8_6:
	s_or_b32 exec_lo, exec_lo, s0
	; wave barrier
	s_and_saveexec_b32 s0, vcc_lo
	s_cbranch_execz .LBB8_8
; %bb.7:
	ds_store_b32 v4, v2
.LBB8_8:
	s_or_b32 exec_lo, exec_lo, s0
	v_mul_lo_u16 v3, v3, 3
	; wave barrier
	s_mov_b32 s0, exec_lo
	s_delay_alu instid0(VALU_DEP_1) | instskip(NEXT) | instid1(VALU_DEP_1)
	v_sub_nc_u16 v0, v0, v3
	v_cmpx_eq_u16_e32 0, v0
	s_cbranch_execz .LBB8_10
; %bb.9:
	v_mul_hi_u32 v0, 0xaaaaaaab, v1
	v_mov_b32_e32 v1, 0
	s_delay_alu instid0(VALU_DEP_2) | instskip(NEXT) | instid1(VALU_DEP_1)
	v_lshrrev_b32_e32 v0, 1, v0
	v_lshlrev_b64 v[0:1], 2, v[0:1]
	s_delay_alu instid0(VALU_DEP_1) | instskip(NEXT) | instid1(VALU_DEP_2)
	v_add_co_u32 v0, vcc_lo, s2, v0
	v_add_co_ci_u32_e32 v1, vcc_lo, s3, v1, vcc_lo
	global_store_b32 v[0:1], v2, off
.LBB8_10:
	s_nop 0
	s_sendmsg sendmsg(MSG_DEALLOC_VGPRS)
	s_endpgm
	.section	.rodata,"a",@progbits
	.p2align	6, 0x0
	.amdhsa_kernel _Z18warp_reduce_kernelIfLj30ELj3EENSt9enable_ifIXsr10test_utilsE35device_test_enabled_for_warp_size_vIXT1_EEEvE4typeEPT_S4_
		.amdhsa_group_segment_fixed_size 120
		.amdhsa_private_segment_fixed_size 0
		.amdhsa_kernarg_size 272
		.amdhsa_user_sgpr_count 15
		.amdhsa_user_sgpr_dispatch_ptr 0
		.amdhsa_user_sgpr_queue_ptr 0
		.amdhsa_user_sgpr_kernarg_segment_ptr 1
		.amdhsa_user_sgpr_dispatch_id 0
		.amdhsa_user_sgpr_private_segment_size 0
		.amdhsa_wavefront_size32 1
		.amdhsa_uses_dynamic_stack 0
		.amdhsa_enable_private_segment 0
		.amdhsa_system_sgpr_workgroup_id_x 1
		.amdhsa_system_sgpr_workgroup_id_y 0
		.amdhsa_system_sgpr_workgroup_id_z 0
		.amdhsa_system_sgpr_workgroup_info 0
		.amdhsa_system_vgpr_workitem_id 0
		.amdhsa_next_free_vgpr 7
		.amdhsa_next_free_sgpr 16
		.amdhsa_reserve_vcc 1
		.amdhsa_float_round_mode_32 0
		.amdhsa_float_round_mode_16_64 0
		.amdhsa_float_denorm_mode_32 3
		.amdhsa_float_denorm_mode_16_64 3
		.amdhsa_dx10_clamp 1
		.amdhsa_ieee_mode 1
		.amdhsa_fp16_overflow 0
		.amdhsa_workgroup_processor_mode 1
		.amdhsa_memory_ordered 1
		.amdhsa_forward_progress 0
		.amdhsa_shared_vgpr_count 0
		.amdhsa_exception_fp_ieee_invalid_op 0
		.amdhsa_exception_fp_denorm_src 0
		.amdhsa_exception_fp_ieee_div_zero 0
		.amdhsa_exception_fp_ieee_overflow 0
		.amdhsa_exception_fp_ieee_underflow 0
		.amdhsa_exception_fp_ieee_inexact 0
		.amdhsa_exception_int_div_zero 0
	.end_amdhsa_kernel
	.section	.text._Z18warp_reduce_kernelIfLj30ELj3EENSt9enable_ifIXsr10test_utilsE35device_test_enabled_for_warp_size_vIXT1_EEEvE4typeEPT_S4_,"axG",@progbits,_Z18warp_reduce_kernelIfLj30ELj3EENSt9enable_ifIXsr10test_utilsE35device_test_enabled_for_warp_size_vIXT1_EEEvE4typeEPT_S4_,comdat
.Lfunc_end8:
	.size	_Z18warp_reduce_kernelIfLj30ELj3EENSt9enable_ifIXsr10test_utilsE35device_test_enabled_for_warp_size_vIXT1_EEEvE4typeEPT_S4_, .Lfunc_end8-_Z18warp_reduce_kernelIfLj30ELj3EENSt9enable_ifIXsr10test_utilsE35device_test_enabled_for_warp_size_vIXT1_EEEvE4typeEPT_S4_
                                        ; -- End function
	.section	.AMDGPU.csdata,"",@progbits
; Kernel info:
; codeLenInByte = 376
; NumSgprs: 18
; NumVgprs: 7
; ScratchSize: 0
; MemoryBound: 0
; FloatMode: 240
; IeeeMode: 1
; LDSByteSize: 120 bytes/workgroup (compile time only)
; SGPRBlocks: 2
; VGPRBlocks: 0
; NumSGPRsForWavesPerEU: 18
; NumVGPRsForWavesPerEU: 7
; Occupancy: 16
; WaveLimiterHint : 0
; COMPUTE_PGM_RSRC2:SCRATCH_EN: 0
; COMPUTE_PGM_RSRC2:USER_SGPR: 15
; COMPUTE_PGM_RSRC2:TRAP_HANDLER: 0
; COMPUTE_PGM_RSRC2:TGID_X_EN: 1
; COMPUTE_PGM_RSRC2:TGID_Y_EN: 0
; COMPUTE_PGM_RSRC2:TGID_Z_EN: 0
; COMPUTE_PGM_RSRC2:TIDIG_COMP_CNT: 0
	.section	.text._Z18warp_reduce_kernelIfLj63ELj3EENSt9enable_ifIXsr10test_utilsE35device_test_enabled_for_warp_size_vIXT1_EEEvE4typeEPT_S4_,"axG",@progbits,_Z18warp_reduce_kernelIfLj63ELj3EENSt9enable_ifIXsr10test_utilsE35device_test_enabled_for_warp_size_vIXT1_EEEvE4typeEPT_S4_,comdat
	.protected	_Z18warp_reduce_kernelIfLj63ELj3EENSt9enable_ifIXsr10test_utilsE35device_test_enabled_for_warp_size_vIXT1_EEEvE4typeEPT_S4_ ; -- Begin function _Z18warp_reduce_kernelIfLj63ELj3EENSt9enable_ifIXsr10test_utilsE35device_test_enabled_for_warp_size_vIXT1_EEEvE4typeEPT_S4_
	.globl	_Z18warp_reduce_kernelIfLj63ELj3EENSt9enable_ifIXsr10test_utilsE35device_test_enabled_for_warp_size_vIXT1_EEEvE4typeEPT_S4_
	.p2align	8
	.type	_Z18warp_reduce_kernelIfLj63ELj3EENSt9enable_ifIXsr10test_utilsE35device_test_enabled_for_warp_size_vIXT1_EEEvE4typeEPT_S4_,@function
_Z18warp_reduce_kernelIfLj63ELj3EENSt9enable_ifIXsr10test_utilsE35device_test_enabled_for_warp_size_vIXT1_EEEvE4typeEPT_S4_: ; @_Z18warp_reduce_kernelIfLj63ELj3EENSt9enable_ifIXsr10test_utilsE35device_test_enabled_for_warp_size_vIXT1_EEEvE4typeEPT_S4_
; %bb.0:
	s_clause 0x1
	s_load_b32 s4, s[0:1], 0x1c
	s_load_b128 s[0:3], s[0:1], 0x0
	v_mul_u32_u24_e32 v5, 0x5556, v0
	s_waitcnt lgkmcnt(0)
	s_and_b32 s4, s4, 0xffff
	s_delay_alu instid0(SALU_CYCLE_1) | instskip(SKIP_1) | instid1(VALU_DEP_1)
	v_mad_u64_u32 v[1:2], null, s15, s4, v[0:1]
	v_mov_b32_e32 v2, 0
	v_lshlrev_b64 v[2:3], 2, v[1:2]
	s_delay_alu instid0(VALU_DEP_1) | instskip(NEXT) | instid1(VALU_DEP_2)
	v_add_co_u32 v2, vcc_lo, s0, v2
	v_add_co_ci_u32_e32 v3, vcc_lo, s1, v3, vcc_lo
	global_load_b32 v2, v[2:3], off
	v_mbcnt_lo_u32_b32 v3, -1, 0
	s_delay_alu instid0(VALU_DEP_1) | instskip(NEXT) | instid1(VALU_DEP_1)
	v_mul_hi_u32 v4, 0x55555556, v3
	v_mul_u32_u24_e32 v4, 3, v4
	s_delay_alu instid0(VALU_DEP_1) | instskip(SKIP_1) | instid1(VALU_DEP_2)
	v_sub_nc_u32_e32 v6, v3, v4
	v_lshrrev_b32_e32 v3, 16, v5
	v_lshlrev_b32_e32 v4, 2, v6
	s_delay_alu instid0(VALU_DEP_2) | instskip(SKIP_1) | instid1(VALU_DEP_3)
	v_mul_u32_u24_e32 v5, 12, v3
	v_cmp_eq_u32_e32 vcc_lo, 0, v6
	v_mad_u32_u24 v4, v3, 12, v4
	s_waitcnt vmcnt(0)
	ds_store_b32 v4, v2
	; wave barrier
	s_and_saveexec_b32 s0, vcc_lo
	s_cbranch_execz .LBB9_2
; %bb.1:
	ds_load_b32 v2, v4
	ds_load_b32 v6, v5 offset:8
	s_waitcnt lgkmcnt(0)
	v_add_f32_e32 v2, v2, v6
.LBB9_2:
	s_or_b32 exec_lo, exec_lo, s0
	; wave barrier
	s_and_saveexec_b32 s0, vcc_lo
	s_cbranch_execz .LBB9_4
; %bb.3:
	ds_store_b32 v4, v2
.LBB9_4:
	s_or_b32 exec_lo, exec_lo, s0
	; wave barrier
	s_and_saveexec_b32 s0, vcc_lo
	s_cbranch_execz .LBB9_6
; %bb.5:
	ds_load_b32 v2, v4
	ds_load_b32 v5, v5 offset:4
	s_waitcnt lgkmcnt(0)
	v_add_f32_e32 v2, v2, v5
.LBB9_6:
	s_or_b32 exec_lo, exec_lo, s0
	; wave barrier
	s_and_saveexec_b32 s0, vcc_lo
	s_cbranch_execz .LBB9_8
; %bb.7:
	ds_store_b32 v4, v2
.LBB9_8:
	s_or_b32 exec_lo, exec_lo, s0
	v_mul_lo_u16 v3, v3, 3
	; wave barrier
	s_mov_b32 s0, exec_lo
	s_delay_alu instid0(VALU_DEP_1) | instskip(NEXT) | instid1(VALU_DEP_1)
	v_sub_nc_u16 v0, v0, v3
	v_cmpx_eq_u16_e32 0, v0
	s_cbranch_execz .LBB9_10
; %bb.9:
	v_mul_hi_u32 v0, 0xaaaaaaab, v1
	v_mov_b32_e32 v1, 0
	s_delay_alu instid0(VALU_DEP_2) | instskip(NEXT) | instid1(VALU_DEP_1)
	v_lshrrev_b32_e32 v0, 1, v0
	v_lshlrev_b64 v[0:1], 2, v[0:1]
	s_delay_alu instid0(VALU_DEP_1) | instskip(NEXT) | instid1(VALU_DEP_2)
	v_add_co_u32 v0, vcc_lo, s2, v0
	v_add_co_ci_u32_e32 v1, vcc_lo, s3, v1, vcc_lo
	global_store_b32 v[0:1], v2, off
.LBB9_10:
	s_nop 0
	s_sendmsg sendmsg(MSG_DEALLOC_VGPRS)
	s_endpgm
	.section	.rodata,"a",@progbits
	.p2align	6, 0x0
	.amdhsa_kernel _Z18warp_reduce_kernelIfLj63ELj3EENSt9enable_ifIXsr10test_utilsE35device_test_enabled_for_warp_size_vIXT1_EEEvE4typeEPT_S4_
		.amdhsa_group_segment_fixed_size 252
		.amdhsa_private_segment_fixed_size 0
		.amdhsa_kernarg_size 272
		.amdhsa_user_sgpr_count 15
		.amdhsa_user_sgpr_dispatch_ptr 0
		.amdhsa_user_sgpr_queue_ptr 0
		.amdhsa_user_sgpr_kernarg_segment_ptr 1
		.amdhsa_user_sgpr_dispatch_id 0
		.amdhsa_user_sgpr_private_segment_size 0
		.amdhsa_wavefront_size32 1
		.amdhsa_uses_dynamic_stack 0
		.amdhsa_enable_private_segment 0
		.amdhsa_system_sgpr_workgroup_id_x 1
		.amdhsa_system_sgpr_workgroup_id_y 0
		.amdhsa_system_sgpr_workgroup_id_z 0
		.amdhsa_system_sgpr_workgroup_info 0
		.amdhsa_system_vgpr_workitem_id 0
		.amdhsa_next_free_vgpr 7
		.amdhsa_next_free_sgpr 16
		.amdhsa_reserve_vcc 1
		.amdhsa_float_round_mode_32 0
		.amdhsa_float_round_mode_16_64 0
		.amdhsa_float_denorm_mode_32 3
		.amdhsa_float_denorm_mode_16_64 3
		.amdhsa_dx10_clamp 1
		.amdhsa_ieee_mode 1
		.amdhsa_fp16_overflow 0
		.amdhsa_workgroup_processor_mode 1
		.amdhsa_memory_ordered 1
		.amdhsa_forward_progress 0
		.amdhsa_shared_vgpr_count 0
		.amdhsa_exception_fp_ieee_invalid_op 0
		.amdhsa_exception_fp_denorm_src 0
		.amdhsa_exception_fp_ieee_div_zero 0
		.amdhsa_exception_fp_ieee_overflow 0
		.amdhsa_exception_fp_ieee_underflow 0
		.amdhsa_exception_fp_ieee_inexact 0
		.amdhsa_exception_int_div_zero 0
	.end_amdhsa_kernel
	.section	.text._Z18warp_reduce_kernelIfLj63ELj3EENSt9enable_ifIXsr10test_utilsE35device_test_enabled_for_warp_size_vIXT1_EEEvE4typeEPT_S4_,"axG",@progbits,_Z18warp_reduce_kernelIfLj63ELj3EENSt9enable_ifIXsr10test_utilsE35device_test_enabled_for_warp_size_vIXT1_EEEvE4typeEPT_S4_,comdat
.Lfunc_end9:
	.size	_Z18warp_reduce_kernelIfLj63ELj3EENSt9enable_ifIXsr10test_utilsE35device_test_enabled_for_warp_size_vIXT1_EEEvE4typeEPT_S4_, .Lfunc_end9-_Z18warp_reduce_kernelIfLj63ELj3EENSt9enable_ifIXsr10test_utilsE35device_test_enabled_for_warp_size_vIXT1_EEEvE4typeEPT_S4_
                                        ; -- End function
	.section	.AMDGPU.csdata,"",@progbits
; Kernel info:
; codeLenInByte = 376
; NumSgprs: 18
; NumVgprs: 7
; ScratchSize: 0
; MemoryBound: 0
; FloatMode: 240
; IeeeMode: 1
; LDSByteSize: 252 bytes/workgroup (compile time only)
; SGPRBlocks: 2
; VGPRBlocks: 0
; NumSGPRsForWavesPerEU: 18
; NumVGPRsForWavesPerEU: 7
; Occupancy: 16
; WaveLimiterHint : 0
; COMPUTE_PGM_RSRC2:SCRATCH_EN: 0
; COMPUTE_PGM_RSRC2:USER_SGPR: 15
; COMPUTE_PGM_RSRC2:TRAP_HANDLER: 0
; COMPUTE_PGM_RSRC2:TGID_X_EN: 1
; COMPUTE_PGM_RSRC2:TGID_Y_EN: 0
; COMPUTE_PGM_RSRC2:TGID_Z_EN: 0
; COMPUTE_PGM_RSRC2:TIDIG_COMP_CNT: 0
	.section	.text._Z18warp_reduce_kernelIiLj1ELj61EENSt9enable_ifIXntsr10test_utilsE35device_test_enabled_for_warp_size_vIXT1_EEEvE4typeEPT_S4_,"axG",@progbits,_Z18warp_reduce_kernelIiLj1ELj61EENSt9enable_ifIXntsr10test_utilsE35device_test_enabled_for_warp_size_vIXT1_EEEvE4typeEPT_S4_,comdat
	.protected	_Z18warp_reduce_kernelIiLj1ELj61EENSt9enable_ifIXntsr10test_utilsE35device_test_enabled_for_warp_size_vIXT1_EEEvE4typeEPT_S4_ ; -- Begin function _Z18warp_reduce_kernelIiLj1ELj61EENSt9enable_ifIXntsr10test_utilsE35device_test_enabled_for_warp_size_vIXT1_EEEvE4typeEPT_S4_
	.globl	_Z18warp_reduce_kernelIiLj1ELj61EENSt9enable_ifIXntsr10test_utilsE35device_test_enabled_for_warp_size_vIXT1_EEEvE4typeEPT_S4_
	.p2align	8
	.type	_Z18warp_reduce_kernelIiLj1ELj61EENSt9enable_ifIXntsr10test_utilsE35device_test_enabled_for_warp_size_vIXT1_EEEvE4typeEPT_S4_,@function
_Z18warp_reduce_kernelIiLj1ELj61EENSt9enable_ifIXntsr10test_utilsE35device_test_enabled_for_warp_size_vIXT1_EEEvE4typeEPT_S4_: ; @_Z18warp_reduce_kernelIiLj1ELj61EENSt9enable_ifIXntsr10test_utilsE35device_test_enabled_for_warp_size_vIXT1_EEEvE4typeEPT_S4_
; %bb.0:
	s_endpgm
	.section	.rodata,"a",@progbits
	.p2align	6, 0x0
	.amdhsa_kernel _Z18warp_reduce_kernelIiLj1ELj61EENSt9enable_ifIXntsr10test_utilsE35device_test_enabled_for_warp_size_vIXT1_EEEvE4typeEPT_S4_
		.amdhsa_group_segment_fixed_size 0
		.amdhsa_private_segment_fixed_size 0
		.amdhsa_kernarg_size 16
		.amdhsa_user_sgpr_count 15
		.amdhsa_user_sgpr_dispatch_ptr 0
		.amdhsa_user_sgpr_queue_ptr 0
		.amdhsa_user_sgpr_kernarg_segment_ptr 1
		.amdhsa_user_sgpr_dispatch_id 0
		.amdhsa_user_sgpr_private_segment_size 0
		.amdhsa_wavefront_size32 1
		.amdhsa_uses_dynamic_stack 0
		.amdhsa_enable_private_segment 0
		.amdhsa_system_sgpr_workgroup_id_x 1
		.amdhsa_system_sgpr_workgroup_id_y 0
		.amdhsa_system_sgpr_workgroup_id_z 0
		.amdhsa_system_sgpr_workgroup_info 0
		.amdhsa_system_vgpr_workitem_id 0
		.amdhsa_next_free_vgpr 1
		.amdhsa_next_free_sgpr 1
		.amdhsa_reserve_vcc 0
		.amdhsa_float_round_mode_32 0
		.amdhsa_float_round_mode_16_64 0
		.amdhsa_float_denorm_mode_32 3
		.amdhsa_float_denorm_mode_16_64 3
		.amdhsa_dx10_clamp 1
		.amdhsa_ieee_mode 1
		.amdhsa_fp16_overflow 0
		.amdhsa_workgroup_processor_mode 1
		.amdhsa_memory_ordered 1
		.amdhsa_forward_progress 0
		.amdhsa_shared_vgpr_count 0
		.amdhsa_exception_fp_ieee_invalid_op 0
		.amdhsa_exception_fp_denorm_src 0
		.amdhsa_exception_fp_ieee_div_zero 0
		.amdhsa_exception_fp_ieee_overflow 0
		.amdhsa_exception_fp_ieee_underflow 0
		.amdhsa_exception_fp_ieee_inexact 0
		.amdhsa_exception_int_div_zero 0
	.end_amdhsa_kernel
	.section	.text._Z18warp_reduce_kernelIiLj1ELj61EENSt9enable_ifIXntsr10test_utilsE35device_test_enabled_for_warp_size_vIXT1_EEEvE4typeEPT_S4_,"axG",@progbits,_Z18warp_reduce_kernelIiLj1ELj61EENSt9enable_ifIXntsr10test_utilsE35device_test_enabled_for_warp_size_vIXT1_EEEvE4typeEPT_S4_,comdat
.Lfunc_end10:
	.size	_Z18warp_reduce_kernelIiLj1ELj61EENSt9enable_ifIXntsr10test_utilsE35device_test_enabled_for_warp_size_vIXT1_EEEvE4typeEPT_S4_, .Lfunc_end10-_Z18warp_reduce_kernelIiLj1ELj61EENSt9enable_ifIXntsr10test_utilsE35device_test_enabled_for_warp_size_vIXT1_EEEvE4typeEPT_S4_
                                        ; -- End function
	.section	.AMDGPU.csdata,"",@progbits
; Kernel info:
; codeLenInByte = 4
; NumSgprs: 0
; NumVgprs: 0
; ScratchSize: 0
; MemoryBound: 0
; FloatMode: 240
; IeeeMode: 1
; LDSByteSize: 0 bytes/workgroup (compile time only)
; SGPRBlocks: 0
; VGPRBlocks: 0
; NumSGPRsForWavesPerEU: 1
; NumVGPRsForWavesPerEU: 1
; Occupancy: 16
; WaveLimiterHint : 0
; COMPUTE_PGM_RSRC2:SCRATCH_EN: 0
; COMPUTE_PGM_RSRC2:USER_SGPR: 15
; COMPUTE_PGM_RSRC2:TRAP_HANDLER: 0
; COMPUTE_PGM_RSRC2:TGID_X_EN: 1
; COMPUTE_PGM_RSRC2:TGID_Y_EN: 0
; COMPUTE_PGM_RSRC2:TGID_Z_EN: 0
; COMPUTE_PGM_RSRC2:TIDIG_COMP_CNT: 0
	.section	.text._Z18warp_reduce_kernelIiLj61ELj61EENSt9enable_ifIXntsr10test_utilsE35device_test_enabled_for_warp_size_vIXT1_EEEvE4typeEPT_S4_,"axG",@progbits,_Z18warp_reduce_kernelIiLj61ELj61EENSt9enable_ifIXntsr10test_utilsE35device_test_enabled_for_warp_size_vIXT1_EEEvE4typeEPT_S4_,comdat
	.protected	_Z18warp_reduce_kernelIiLj61ELj61EENSt9enable_ifIXntsr10test_utilsE35device_test_enabled_for_warp_size_vIXT1_EEEvE4typeEPT_S4_ ; -- Begin function _Z18warp_reduce_kernelIiLj61ELj61EENSt9enable_ifIXntsr10test_utilsE35device_test_enabled_for_warp_size_vIXT1_EEEvE4typeEPT_S4_
	.globl	_Z18warp_reduce_kernelIiLj61ELj61EENSt9enable_ifIXntsr10test_utilsE35device_test_enabled_for_warp_size_vIXT1_EEEvE4typeEPT_S4_
	.p2align	8
	.type	_Z18warp_reduce_kernelIiLj61ELj61EENSt9enable_ifIXntsr10test_utilsE35device_test_enabled_for_warp_size_vIXT1_EEEvE4typeEPT_S4_,@function
_Z18warp_reduce_kernelIiLj61ELj61EENSt9enable_ifIXntsr10test_utilsE35device_test_enabled_for_warp_size_vIXT1_EEEvE4typeEPT_S4_: ; @_Z18warp_reduce_kernelIiLj61ELj61EENSt9enable_ifIXntsr10test_utilsE35device_test_enabled_for_warp_size_vIXT1_EEEvE4typeEPT_S4_
; %bb.0:
	s_endpgm
	.section	.rodata,"a",@progbits
	.p2align	6, 0x0
	.amdhsa_kernel _Z18warp_reduce_kernelIiLj61ELj61EENSt9enable_ifIXntsr10test_utilsE35device_test_enabled_for_warp_size_vIXT1_EEEvE4typeEPT_S4_
		.amdhsa_group_segment_fixed_size 0
		.amdhsa_private_segment_fixed_size 0
		.amdhsa_kernarg_size 16
		.amdhsa_user_sgpr_count 15
		.amdhsa_user_sgpr_dispatch_ptr 0
		.amdhsa_user_sgpr_queue_ptr 0
		.amdhsa_user_sgpr_kernarg_segment_ptr 1
		.amdhsa_user_sgpr_dispatch_id 0
		.amdhsa_user_sgpr_private_segment_size 0
		.amdhsa_wavefront_size32 1
		.amdhsa_uses_dynamic_stack 0
		.amdhsa_enable_private_segment 0
		.amdhsa_system_sgpr_workgroup_id_x 1
		.amdhsa_system_sgpr_workgroup_id_y 0
		.amdhsa_system_sgpr_workgroup_id_z 0
		.amdhsa_system_sgpr_workgroup_info 0
		.amdhsa_system_vgpr_workitem_id 0
		.amdhsa_next_free_vgpr 1
		.amdhsa_next_free_sgpr 1
		.amdhsa_reserve_vcc 0
		.amdhsa_float_round_mode_32 0
		.amdhsa_float_round_mode_16_64 0
		.amdhsa_float_denorm_mode_32 3
		.amdhsa_float_denorm_mode_16_64 3
		.amdhsa_dx10_clamp 1
		.amdhsa_ieee_mode 1
		.amdhsa_fp16_overflow 0
		.amdhsa_workgroup_processor_mode 1
		.amdhsa_memory_ordered 1
		.amdhsa_forward_progress 0
		.amdhsa_shared_vgpr_count 0
		.amdhsa_exception_fp_ieee_invalid_op 0
		.amdhsa_exception_fp_denorm_src 0
		.amdhsa_exception_fp_ieee_div_zero 0
		.amdhsa_exception_fp_ieee_overflow 0
		.amdhsa_exception_fp_ieee_underflow 0
		.amdhsa_exception_fp_ieee_inexact 0
		.amdhsa_exception_int_div_zero 0
	.end_amdhsa_kernel
	.section	.text._Z18warp_reduce_kernelIiLj61ELj61EENSt9enable_ifIXntsr10test_utilsE35device_test_enabled_for_warp_size_vIXT1_EEEvE4typeEPT_S4_,"axG",@progbits,_Z18warp_reduce_kernelIiLj61ELj61EENSt9enable_ifIXntsr10test_utilsE35device_test_enabled_for_warp_size_vIXT1_EEEvE4typeEPT_S4_,comdat
.Lfunc_end11:
	.size	_Z18warp_reduce_kernelIiLj61ELj61EENSt9enable_ifIXntsr10test_utilsE35device_test_enabled_for_warp_size_vIXT1_EEEvE4typeEPT_S4_, .Lfunc_end11-_Z18warp_reduce_kernelIiLj61ELj61EENSt9enable_ifIXntsr10test_utilsE35device_test_enabled_for_warp_size_vIXT1_EEEvE4typeEPT_S4_
                                        ; -- End function
	.section	.AMDGPU.csdata,"",@progbits
; Kernel info:
; codeLenInByte = 4
; NumSgprs: 0
; NumVgprs: 0
; ScratchSize: 0
; MemoryBound: 0
; FloatMode: 240
; IeeeMode: 1
; LDSByteSize: 0 bytes/workgroup (compile time only)
; SGPRBlocks: 0
; VGPRBlocks: 0
; NumSGPRsForWavesPerEU: 1
; NumVGPRsForWavesPerEU: 1
; Occupancy: 16
; WaveLimiterHint : 0
; COMPUTE_PGM_RSRC2:SCRATCH_EN: 0
; COMPUTE_PGM_RSRC2:USER_SGPR: 15
; COMPUTE_PGM_RSRC2:TRAP_HANDLER: 0
; COMPUTE_PGM_RSRC2:TGID_X_EN: 1
; COMPUTE_PGM_RSRC2:TGID_Y_EN: 0
; COMPUTE_PGM_RSRC2:TGID_Z_EN: 0
; COMPUTE_PGM_RSRC2:TIDIG_COMP_CNT: 0
	.section	.text._Z18warp_reduce_kernelIiLj1ELj37EENSt9enable_ifIXntsr10test_utilsE35device_test_enabled_for_warp_size_vIXT1_EEEvE4typeEPT_S4_,"axG",@progbits,_Z18warp_reduce_kernelIiLj1ELj37EENSt9enable_ifIXntsr10test_utilsE35device_test_enabled_for_warp_size_vIXT1_EEEvE4typeEPT_S4_,comdat
	.protected	_Z18warp_reduce_kernelIiLj1ELj37EENSt9enable_ifIXntsr10test_utilsE35device_test_enabled_for_warp_size_vIXT1_EEEvE4typeEPT_S4_ ; -- Begin function _Z18warp_reduce_kernelIiLj1ELj37EENSt9enable_ifIXntsr10test_utilsE35device_test_enabled_for_warp_size_vIXT1_EEEvE4typeEPT_S4_
	.globl	_Z18warp_reduce_kernelIiLj1ELj37EENSt9enable_ifIXntsr10test_utilsE35device_test_enabled_for_warp_size_vIXT1_EEEvE4typeEPT_S4_
	.p2align	8
	.type	_Z18warp_reduce_kernelIiLj1ELj37EENSt9enable_ifIXntsr10test_utilsE35device_test_enabled_for_warp_size_vIXT1_EEEvE4typeEPT_S4_,@function
_Z18warp_reduce_kernelIiLj1ELj37EENSt9enable_ifIXntsr10test_utilsE35device_test_enabled_for_warp_size_vIXT1_EEEvE4typeEPT_S4_: ; @_Z18warp_reduce_kernelIiLj1ELj37EENSt9enable_ifIXntsr10test_utilsE35device_test_enabled_for_warp_size_vIXT1_EEEvE4typeEPT_S4_
; %bb.0:
	s_endpgm
	.section	.rodata,"a",@progbits
	.p2align	6, 0x0
	.amdhsa_kernel _Z18warp_reduce_kernelIiLj1ELj37EENSt9enable_ifIXntsr10test_utilsE35device_test_enabled_for_warp_size_vIXT1_EEEvE4typeEPT_S4_
		.amdhsa_group_segment_fixed_size 0
		.amdhsa_private_segment_fixed_size 0
		.amdhsa_kernarg_size 16
		.amdhsa_user_sgpr_count 15
		.amdhsa_user_sgpr_dispatch_ptr 0
		.amdhsa_user_sgpr_queue_ptr 0
		.amdhsa_user_sgpr_kernarg_segment_ptr 1
		.amdhsa_user_sgpr_dispatch_id 0
		.amdhsa_user_sgpr_private_segment_size 0
		.amdhsa_wavefront_size32 1
		.amdhsa_uses_dynamic_stack 0
		.amdhsa_enable_private_segment 0
		.amdhsa_system_sgpr_workgroup_id_x 1
		.amdhsa_system_sgpr_workgroup_id_y 0
		.amdhsa_system_sgpr_workgroup_id_z 0
		.amdhsa_system_sgpr_workgroup_info 0
		.amdhsa_system_vgpr_workitem_id 0
		.amdhsa_next_free_vgpr 1
		.amdhsa_next_free_sgpr 1
		.amdhsa_reserve_vcc 0
		.amdhsa_float_round_mode_32 0
		.amdhsa_float_round_mode_16_64 0
		.amdhsa_float_denorm_mode_32 3
		.amdhsa_float_denorm_mode_16_64 3
		.amdhsa_dx10_clamp 1
		.amdhsa_ieee_mode 1
		.amdhsa_fp16_overflow 0
		.amdhsa_workgroup_processor_mode 1
		.amdhsa_memory_ordered 1
		.amdhsa_forward_progress 0
		.amdhsa_shared_vgpr_count 0
		.amdhsa_exception_fp_ieee_invalid_op 0
		.amdhsa_exception_fp_denorm_src 0
		.amdhsa_exception_fp_ieee_div_zero 0
		.amdhsa_exception_fp_ieee_overflow 0
		.amdhsa_exception_fp_ieee_underflow 0
		.amdhsa_exception_fp_ieee_inexact 0
		.amdhsa_exception_int_div_zero 0
	.end_amdhsa_kernel
	.section	.text._Z18warp_reduce_kernelIiLj1ELj37EENSt9enable_ifIXntsr10test_utilsE35device_test_enabled_for_warp_size_vIXT1_EEEvE4typeEPT_S4_,"axG",@progbits,_Z18warp_reduce_kernelIiLj1ELj37EENSt9enable_ifIXntsr10test_utilsE35device_test_enabled_for_warp_size_vIXT1_EEEvE4typeEPT_S4_,comdat
.Lfunc_end12:
	.size	_Z18warp_reduce_kernelIiLj1ELj37EENSt9enable_ifIXntsr10test_utilsE35device_test_enabled_for_warp_size_vIXT1_EEEvE4typeEPT_S4_, .Lfunc_end12-_Z18warp_reduce_kernelIiLj1ELj37EENSt9enable_ifIXntsr10test_utilsE35device_test_enabled_for_warp_size_vIXT1_EEEvE4typeEPT_S4_
                                        ; -- End function
	.section	.AMDGPU.csdata,"",@progbits
; Kernel info:
; codeLenInByte = 4
; NumSgprs: 0
; NumVgprs: 0
; ScratchSize: 0
; MemoryBound: 0
; FloatMode: 240
; IeeeMode: 1
; LDSByteSize: 0 bytes/workgroup (compile time only)
; SGPRBlocks: 0
; VGPRBlocks: 0
; NumSGPRsForWavesPerEU: 1
; NumVGPRsForWavesPerEU: 1
; Occupancy: 16
; WaveLimiterHint : 0
; COMPUTE_PGM_RSRC2:SCRATCH_EN: 0
; COMPUTE_PGM_RSRC2:USER_SGPR: 15
; COMPUTE_PGM_RSRC2:TRAP_HANDLER: 0
; COMPUTE_PGM_RSRC2:TGID_X_EN: 1
; COMPUTE_PGM_RSRC2:TGID_Y_EN: 0
; COMPUTE_PGM_RSRC2:TGID_Z_EN: 0
; COMPUTE_PGM_RSRC2:TIDIG_COMP_CNT: 0
	.section	.text._Z18warp_reduce_kernelIiLj37ELj37EENSt9enable_ifIXntsr10test_utilsE35device_test_enabled_for_warp_size_vIXT1_EEEvE4typeEPT_S4_,"axG",@progbits,_Z18warp_reduce_kernelIiLj37ELj37EENSt9enable_ifIXntsr10test_utilsE35device_test_enabled_for_warp_size_vIXT1_EEEvE4typeEPT_S4_,comdat
	.protected	_Z18warp_reduce_kernelIiLj37ELj37EENSt9enable_ifIXntsr10test_utilsE35device_test_enabled_for_warp_size_vIXT1_EEEvE4typeEPT_S4_ ; -- Begin function _Z18warp_reduce_kernelIiLj37ELj37EENSt9enable_ifIXntsr10test_utilsE35device_test_enabled_for_warp_size_vIXT1_EEEvE4typeEPT_S4_
	.globl	_Z18warp_reduce_kernelIiLj37ELj37EENSt9enable_ifIXntsr10test_utilsE35device_test_enabled_for_warp_size_vIXT1_EEEvE4typeEPT_S4_
	.p2align	8
	.type	_Z18warp_reduce_kernelIiLj37ELj37EENSt9enable_ifIXntsr10test_utilsE35device_test_enabled_for_warp_size_vIXT1_EEEvE4typeEPT_S4_,@function
_Z18warp_reduce_kernelIiLj37ELj37EENSt9enable_ifIXntsr10test_utilsE35device_test_enabled_for_warp_size_vIXT1_EEEvE4typeEPT_S4_: ; @_Z18warp_reduce_kernelIiLj37ELj37EENSt9enable_ifIXntsr10test_utilsE35device_test_enabled_for_warp_size_vIXT1_EEEvE4typeEPT_S4_
; %bb.0:
	s_endpgm
	.section	.rodata,"a",@progbits
	.p2align	6, 0x0
	.amdhsa_kernel _Z18warp_reduce_kernelIiLj37ELj37EENSt9enable_ifIXntsr10test_utilsE35device_test_enabled_for_warp_size_vIXT1_EEEvE4typeEPT_S4_
		.amdhsa_group_segment_fixed_size 0
		.amdhsa_private_segment_fixed_size 0
		.amdhsa_kernarg_size 16
		.amdhsa_user_sgpr_count 15
		.amdhsa_user_sgpr_dispatch_ptr 0
		.amdhsa_user_sgpr_queue_ptr 0
		.amdhsa_user_sgpr_kernarg_segment_ptr 1
		.amdhsa_user_sgpr_dispatch_id 0
		.amdhsa_user_sgpr_private_segment_size 0
		.amdhsa_wavefront_size32 1
		.amdhsa_uses_dynamic_stack 0
		.amdhsa_enable_private_segment 0
		.amdhsa_system_sgpr_workgroup_id_x 1
		.amdhsa_system_sgpr_workgroup_id_y 0
		.amdhsa_system_sgpr_workgroup_id_z 0
		.amdhsa_system_sgpr_workgroup_info 0
		.amdhsa_system_vgpr_workitem_id 0
		.amdhsa_next_free_vgpr 1
		.amdhsa_next_free_sgpr 1
		.amdhsa_reserve_vcc 0
		.amdhsa_float_round_mode_32 0
		.amdhsa_float_round_mode_16_64 0
		.amdhsa_float_denorm_mode_32 3
		.amdhsa_float_denorm_mode_16_64 3
		.amdhsa_dx10_clamp 1
		.amdhsa_ieee_mode 1
		.amdhsa_fp16_overflow 0
		.amdhsa_workgroup_processor_mode 1
		.amdhsa_memory_ordered 1
		.amdhsa_forward_progress 0
		.amdhsa_shared_vgpr_count 0
		.amdhsa_exception_fp_ieee_invalid_op 0
		.amdhsa_exception_fp_denorm_src 0
		.amdhsa_exception_fp_ieee_div_zero 0
		.amdhsa_exception_fp_ieee_overflow 0
		.amdhsa_exception_fp_ieee_underflow 0
		.amdhsa_exception_fp_ieee_inexact 0
		.amdhsa_exception_int_div_zero 0
	.end_amdhsa_kernel
	.section	.text._Z18warp_reduce_kernelIiLj37ELj37EENSt9enable_ifIXntsr10test_utilsE35device_test_enabled_for_warp_size_vIXT1_EEEvE4typeEPT_S4_,"axG",@progbits,_Z18warp_reduce_kernelIiLj37ELj37EENSt9enable_ifIXntsr10test_utilsE35device_test_enabled_for_warp_size_vIXT1_EEEvE4typeEPT_S4_,comdat
.Lfunc_end13:
	.size	_Z18warp_reduce_kernelIiLj37ELj37EENSt9enable_ifIXntsr10test_utilsE35device_test_enabled_for_warp_size_vIXT1_EEEvE4typeEPT_S4_, .Lfunc_end13-_Z18warp_reduce_kernelIiLj37ELj37EENSt9enable_ifIXntsr10test_utilsE35device_test_enabled_for_warp_size_vIXT1_EEEvE4typeEPT_S4_
                                        ; -- End function
	.section	.AMDGPU.csdata,"",@progbits
; Kernel info:
; codeLenInByte = 4
; NumSgprs: 0
; NumVgprs: 0
; ScratchSize: 0
; MemoryBound: 0
; FloatMode: 240
; IeeeMode: 1
; LDSByteSize: 0 bytes/workgroup (compile time only)
; SGPRBlocks: 0
; VGPRBlocks: 0
; NumSGPRsForWavesPerEU: 1
; NumVGPRsForWavesPerEU: 1
; Occupancy: 16
; WaveLimiterHint : 0
; COMPUTE_PGM_RSRC2:SCRATCH_EN: 0
; COMPUTE_PGM_RSRC2:USER_SGPR: 15
; COMPUTE_PGM_RSRC2:TRAP_HANDLER: 0
; COMPUTE_PGM_RSRC2:TGID_X_EN: 1
; COMPUTE_PGM_RSRC2:TGID_Y_EN: 0
; COMPUTE_PGM_RSRC2:TGID_Z_EN: 0
; COMPUTE_PGM_RSRC2:TIDIG_COMP_CNT: 0
	.section	.text._Z18warp_reduce_kernelIiLj30ELj15EENSt9enable_ifIXsr10test_utilsE35device_test_enabled_for_warp_size_vIXT1_EEEvE4typeEPT_S4_,"axG",@progbits,_Z18warp_reduce_kernelIiLj30ELj15EENSt9enable_ifIXsr10test_utilsE35device_test_enabled_for_warp_size_vIXT1_EEEvE4typeEPT_S4_,comdat
	.protected	_Z18warp_reduce_kernelIiLj30ELj15EENSt9enable_ifIXsr10test_utilsE35device_test_enabled_for_warp_size_vIXT1_EEEvE4typeEPT_S4_ ; -- Begin function _Z18warp_reduce_kernelIiLj30ELj15EENSt9enable_ifIXsr10test_utilsE35device_test_enabled_for_warp_size_vIXT1_EEEvE4typeEPT_S4_
	.globl	_Z18warp_reduce_kernelIiLj30ELj15EENSt9enable_ifIXsr10test_utilsE35device_test_enabled_for_warp_size_vIXT1_EEEvE4typeEPT_S4_
	.p2align	8
	.type	_Z18warp_reduce_kernelIiLj30ELj15EENSt9enable_ifIXsr10test_utilsE35device_test_enabled_for_warp_size_vIXT1_EEEvE4typeEPT_S4_,@function
_Z18warp_reduce_kernelIiLj30ELj15EENSt9enable_ifIXsr10test_utilsE35device_test_enabled_for_warp_size_vIXT1_EEEvE4typeEPT_S4_: ; @_Z18warp_reduce_kernelIiLj30ELj15EENSt9enable_ifIXsr10test_utilsE35device_test_enabled_for_warp_size_vIXT1_EEEvE4typeEPT_S4_
; %bb.0:
	s_clause 0x1
	s_load_b32 s4, s[0:1], 0x1c
	s_load_b128 s[0:3], s[0:1], 0x0
	v_mul_u32_u24_e32 v6, 0x1112, v0
	s_waitcnt lgkmcnt(0)
	s_and_b32 s4, s4, 0xffff
	s_delay_alu instid0(SALU_CYCLE_1) | instskip(SKIP_1) | instid1(VALU_DEP_1)
	v_mad_u64_u32 v[1:2], null, s15, s4, v[0:1]
	v_mov_b32_e32 v2, 0
	v_lshlrev_b64 v[2:3], 2, v[1:2]
	s_delay_alu instid0(VALU_DEP_1) | instskip(NEXT) | instid1(VALU_DEP_2)
	v_add_co_u32 v2, vcc_lo, s0, v2
	v_add_co_ci_u32_e32 v3, vcc_lo, s1, v3, vcc_lo
	global_load_b32 v2, v[2:3], off
	v_mbcnt_lo_u32_b32 v3, -1, 0
	s_delay_alu instid0(VALU_DEP_1) | instskip(NEXT) | instid1(VALU_DEP_1)
	v_mul_hi_u32 v4, 0x11111112, v3
	v_mul_u32_u24_e32 v4, 15, v4
	s_delay_alu instid0(VALU_DEP_1) | instskip(SKIP_1) | instid1(VALU_DEP_2)
	v_sub_nc_u32_e32 v5, v3, v4
	v_lshrrev_b32_e32 v3, 16, v6
	v_lshlrev_b32_e32 v4, 2, v5
	v_cmp_gt_u32_e32 vcc_lo, 7, v5
	s_delay_alu instid0(VALU_DEP_2)
	v_mad_u32_u24 v4, v3, 60, v4
	s_waitcnt vmcnt(0)
	ds_store_b32 v4, v2
	; wave barrier
	s_and_saveexec_b32 s0, vcc_lo
	s_cbranch_execz .LBB14_2
; %bb.1:
	ds_load_2addr_b32 v[6:7], v4 offset1:8
	s_waitcnt lgkmcnt(0)
	v_add_nc_u32_e32 v2, v7, v6
.LBB14_2:
	s_or_b32 exec_lo, exec_lo, s0
	; wave barrier
	s_and_saveexec_b32 s0, vcc_lo
	s_cbranch_execz .LBB14_4
; %bb.3:
	ds_store_b32 v4, v2
.LBB14_4:
	s_or_b32 exec_lo, exec_lo, s0
	v_cmp_gt_u32_e32 vcc_lo, 4, v5
	; wave barrier
	s_and_saveexec_b32 s0, vcc_lo
	s_cbranch_execz .LBB14_6
; %bb.5:
	ds_load_2addr_b32 v[6:7], v4 offset1:4
	s_waitcnt lgkmcnt(0)
	v_add_nc_u32_e32 v2, v7, v6
.LBB14_6:
	s_or_b32 exec_lo, exec_lo, s0
	; wave barrier
	s_and_saveexec_b32 s0, vcc_lo
	s_cbranch_execz .LBB14_8
; %bb.7:
	ds_store_b32 v4, v2
.LBB14_8:
	s_or_b32 exec_lo, exec_lo, s0
	v_cmp_gt_u32_e32 vcc_lo, 2, v5
	; wave barrier
	s_and_saveexec_b32 s0, vcc_lo
	s_cbranch_execz .LBB14_10
; %bb.9:
	ds_load_2addr_b32 v[6:7], v4 offset1:2
	s_waitcnt lgkmcnt(0)
	v_add_nc_u32_e32 v2, v7, v6
.LBB14_10:
	s_or_b32 exec_lo, exec_lo, s0
	; wave barrier
	s_and_saveexec_b32 s0, vcc_lo
	s_cbranch_execz .LBB14_12
; %bb.11:
	ds_store_b32 v4, v2
.LBB14_12:
	s_or_b32 exec_lo, exec_lo, s0
	v_cmp_eq_u32_e32 vcc_lo, 0, v5
	; wave barrier
	s_and_saveexec_b32 s0, vcc_lo
	s_cbranch_execz .LBB14_14
; %bb.13:
	v_mul_u32_u24_e32 v2, 60, v3
	ds_load_b32 v5, v4
	ds_load_b32 v2, v2 offset:4
	s_waitcnt lgkmcnt(0)
	v_add_nc_u32_e32 v2, v2, v5
.LBB14_14:
	s_or_b32 exec_lo, exec_lo, s0
	; wave barrier
	s_and_saveexec_b32 s0, vcc_lo
	s_cbranch_execz .LBB14_16
; %bb.15:
	ds_store_b32 v4, v2
.LBB14_16:
	s_or_b32 exec_lo, exec_lo, s0
	v_mul_lo_u16 v3, v3, 15
	; wave barrier
	s_mov_b32 s0, exec_lo
	s_delay_alu instid0(VALU_DEP_1) | instskip(NEXT) | instid1(VALU_DEP_1)
	v_sub_nc_u16 v0, v0, v3
	v_cmpx_eq_u16_e32 0, v0
	s_cbranch_execz .LBB14_18
; %bb.17:
	v_mul_hi_u32 v0, 0x88888889, v1
	s_delay_alu instid0(VALU_DEP_1) | instskip(NEXT) | instid1(VALU_DEP_1)
	v_lshrrev_b32_e32 v0, 1, v0
	v_and_b32_e32 v0, 0x7ffffffc, v0
	global_store_b32 v0, v2, s[2:3]
.LBB14_18:
	s_nop 0
	s_sendmsg sendmsg(MSG_DEALLOC_VGPRS)
	s_endpgm
	.section	.rodata,"a",@progbits
	.p2align	6, 0x0
	.amdhsa_kernel _Z18warp_reduce_kernelIiLj30ELj15EENSt9enable_ifIXsr10test_utilsE35device_test_enabled_for_warp_size_vIXT1_EEEvE4typeEPT_S4_
		.amdhsa_group_segment_fixed_size 120
		.amdhsa_private_segment_fixed_size 0
		.amdhsa_kernarg_size 272
		.amdhsa_user_sgpr_count 15
		.amdhsa_user_sgpr_dispatch_ptr 0
		.amdhsa_user_sgpr_queue_ptr 0
		.amdhsa_user_sgpr_kernarg_segment_ptr 1
		.amdhsa_user_sgpr_dispatch_id 0
		.amdhsa_user_sgpr_private_segment_size 0
		.amdhsa_wavefront_size32 1
		.amdhsa_uses_dynamic_stack 0
		.amdhsa_enable_private_segment 0
		.amdhsa_system_sgpr_workgroup_id_x 1
		.amdhsa_system_sgpr_workgroup_id_y 0
		.amdhsa_system_sgpr_workgroup_id_z 0
		.amdhsa_system_sgpr_workgroup_info 0
		.amdhsa_system_vgpr_workitem_id 0
		.amdhsa_next_free_vgpr 8
		.amdhsa_next_free_sgpr 16
		.amdhsa_reserve_vcc 1
		.amdhsa_float_round_mode_32 0
		.amdhsa_float_round_mode_16_64 0
		.amdhsa_float_denorm_mode_32 3
		.amdhsa_float_denorm_mode_16_64 3
		.amdhsa_dx10_clamp 1
		.amdhsa_ieee_mode 1
		.amdhsa_fp16_overflow 0
		.amdhsa_workgroup_processor_mode 1
		.amdhsa_memory_ordered 1
		.amdhsa_forward_progress 0
		.amdhsa_shared_vgpr_count 0
		.amdhsa_exception_fp_ieee_invalid_op 0
		.amdhsa_exception_fp_denorm_src 0
		.amdhsa_exception_fp_ieee_div_zero 0
		.amdhsa_exception_fp_ieee_overflow 0
		.amdhsa_exception_fp_ieee_underflow 0
		.amdhsa_exception_fp_ieee_inexact 0
		.amdhsa_exception_int_div_zero 0
	.end_amdhsa_kernel
	.section	.text._Z18warp_reduce_kernelIiLj30ELj15EENSt9enable_ifIXsr10test_utilsE35device_test_enabled_for_warp_size_vIXT1_EEEvE4typeEPT_S4_,"axG",@progbits,_Z18warp_reduce_kernelIiLj30ELj15EENSt9enable_ifIXsr10test_utilsE35device_test_enabled_for_warp_size_vIXT1_EEEvE4typeEPT_S4_,comdat
.Lfunc_end14:
	.size	_Z18warp_reduce_kernelIiLj30ELj15EENSt9enable_ifIXsr10test_utilsE35device_test_enabled_for_warp_size_vIXT1_EEEvE4typeEPT_S4_, .Lfunc_end14-_Z18warp_reduce_kernelIiLj30ELj15EENSt9enable_ifIXsr10test_utilsE35device_test_enabled_for_warp_size_vIXT1_EEEvE4typeEPT_S4_
                                        ; -- End function
	.section	.AMDGPU.csdata,"",@progbits
; Kernel info:
; codeLenInByte = 456
; NumSgprs: 18
; NumVgprs: 8
; ScratchSize: 0
; MemoryBound: 0
; FloatMode: 240
; IeeeMode: 1
; LDSByteSize: 120 bytes/workgroup (compile time only)
; SGPRBlocks: 2
; VGPRBlocks: 0
; NumSGPRsForWavesPerEU: 18
; NumVGPRsForWavesPerEU: 8
; Occupancy: 16
; WaveLimiterHint : 0
; COMPUTE_PGM_RSRC2:SCRATCH_EN: 0
; COMPUTE_PGM_RSRC2:USER_SGPR: 15
; COMPUTE_PGM_RSRC2:TRAP_HANDLER: 0
; COMPUTE_PGM_RSRC2:TGID_X_EN: 1
; COMPUTE_PGM_RSRC2:TGID_Y_EN: 0
; COMPUTE_PGM_RSRC2:TGID_Z_EN: 0
; COMPUTE_PGM_RSRC2:TIDIG_COMP_CNT: 0
	.section	.text._Z18warp_reduce_kernelIiLj60ELj15EENSt9enable_ifIXsr10test_utilsE35device_test_enabled_for_warp_size_vIXT1_EEEvE4typeEPT_S4_,"axG",@progbits,_Z18warp_reduce_kernelIiLj60ELj15EENSt9enable_ifIXsr10test_utilsE35device_test_enabled_for_warp_size_vIXT1_EEEvE4typeEPT_S4_,comdat
	.protected	_Z18warp_reduce_kernelIiLj60ELj15EENSt9enable_ifIXsr10test_utilsE35device_test_enabled_for_warp_size_vIXT1_EEEvE4typeEPT_S4_ ; -- Begin function _Z18warp_reduce_kernelIiLj60ELj15EENSt9enable_ifIXsr10test_utilsE35device_test_enabled_for_warp_size_vIXT1_EEEvE4typeEPT_S4_
	.globl	_Z18warp_reduce_kernelIiLj60ELj15EENSt9enable_ifIXsr10test_utilsE35device_test_enabled_for_warp_size_vIXT1_EEEvE4typeEPT_S4_
	.p2align	8
	.type	_Z18warp_reduce_kernelIiLj60ELj15EENSt9enable_ifIXsr10test_utilsE35device_test_enabled_for_warp_size_vIXT1_EEEvE4typeEPT_S4_,@function
_Z18warp_reduce_kernelIiLj60ELj15EENSt9enable_ifIXsr10test_utilsE35device_test_enabled_for_warp_size_vIXT1_EEEvE4typeEPT_S4_: ; @_Z18warp_reduce_kernelIiLj60ELj15EENSt9enable_ifIXsr10test_utilsE35device_test_enabled_for_warp_size_vIXT1_EEEvE4typeEPT_S4_
; %bb.0:
	s_clause 0x1
	s_load_b32 s4, s[0:1], 0x1c
	s_load_b128 s[0:3], s[0:1], 0x0
	v_mul_u32_u24_e32 v6, 0x1112, v0
	s_waitcnt lgkmcnt(0)
	s_and_b32 s4, s4, 0xffff
	s_delay_alu instid0(SALU_CYCLE_1) | instskip(SKIP_1) | instid1(VALU_DEP_1)
	v_mad_u64_u32 v[1:2], null, s15, s4, v[0:1]
	v_mov_b32_e32 v2, 0
	v_lshlrev_b64 v[2:3], 2, v[1:2]
	s_delay_alu instid0(VALU_DEP_1) | instskip(NEXT) | instid1(VALU_DEP_2)
	v_add_co_u32 v2, vcc_lo, s0, v2
	v_add_co_ci_u32_e32 v3, vcc_lo, s1, v3, vcc_lo
	global_load_b32 v2, v[2:3], off
	v_mbcnt_lo_u32_b32 v3, -1, 0
	s_delay_alu instid0(VALU_DEP_1) | instskip(NEXT) | instid1(VALU_DEP_1)
	v_mul_hi_u32 v4, 0x11111112, v3
	v_mul_u32_u24_e32 v4, 15, v4
	s_delay_alu instid0(VALU_DEP_1) | instskip(SKIP_1) | instid1(VALU_DEP_2)
	v_sub_nc_u32_e32 v5, v3, v4
	v_lshrrev_b32_e32 v3, 16, v6
	v_lshlrev_b32_e32 v4, 2, v5
	v_cmp_gt_u32_e32 vcc_lo, 7, v5
	s_delay_alu instid0(VALU_DEP_2)
	v_mad_u32_u24 v4, v3, 60, v4
	s_waitcnt vmcnt(0)
	ds_store_b32 v4, v2
	; wave barrier
	s_and_saveexec_b32 s0, vcc_lo
	s_cbranch_execz .LBB15_2
; %bb.1:
	ds_load_2addr_b32 v[6:7], v4 offset1:8
	s_waitcnt lgkmcnt(0)
	v_add_nc_u32_e32 v2, v7, v6
.LBB15_2:
	s_or_b32 exec_lo, exec_lo, s0
	; wave barrier
	s_and_saveexec_b32 s0, vcc_lo
	s_cbranch_execz .LBB15_4
; %bb.3:
	ds_store_b32 v4, v2
.LBB15_4:
	s_or_b32 exec_lo, exec_lo, s0
	v_cmp_gt_u32_e32 vcc_lo, 4, v5
	; wave barrier
	s_and_saveexec_b32 s0, vcc_lo
	s_cbranch_execz .LBB15_6
; %bb.5:
	ds_load_2addr_b32 v[6:7], v4 offset1:4
	s_waitcnt lgkmcnt(0)
	v_add_nc_u32_e32 v2, v7, v6
.LBB15_6:
	s_or_b32 exec_lo, exec_lo, s0
	; wave barrier
	s_and_saveexec_b32 s0, vcc_lo
	s_cbranch_execz .LBB15_8
; %bb.7:
	ds_store_b32 v4, v2
.LBB15_8:
	s_or_b32 exec_lo, exec_lo, s0
	v_cmp_gt_u32_e32 vcc_lo, 2, v5
	; wave barrier
	s_and_saveexec_b32 s0, vcc_lo
	s_cbranch_execz .LBB15_10
; %bb.9:
	ds_load_2addr_b32 v[6:7], v4 offset1:2
	s_waitcnt lgkmcnt(0)
	v_add_nc_u32_e32 v2, v7, v6
.LBB15_10:
	s_or_b32 exec_lo, exec_lo, s0
	; wave barrier
	s_and_saveexec_b32 s0, vcc_lo
	s_cbranch_execz .LBB15_12
; %bb.11:
	ds_store_b32 v4, v2
.LBB15_12:
	s_or_b32 exec_lo, exec_lo, s0
	v_cmp_eq_u32_e32 vcc_lo, 0, v5
	; wave barrier
	s_and_saveexec_b32 s0, vcc_lo
	s_cbranch_execz .LBB15_14
; %bb.13:
	v_mul_u32_u24_e32 v2, 60, v3
	ds_load_b32 v5, v4
	ds_load_b32 v2, v2 offset:4
	s_waitcnt lgkmcnt(0)
	v_add_nc_u32_e32 v2, v2, v5
.LBB15_14:
	s_or_b32 exec_lo, exec_lo, s0
	; wave barrier
	s_and_saveexec_b32 s0, vcc_lo
	s_cbranch_execz .LBB15_16
; %bb.15:
	ds_store_b32 v4, v2
.LBB15_16:
	s_or_b32 exec_lo, exec_lo, s0
	v_mul_lo_u16 v3, v3, 15
	; wave barrier
	s_mov_b32 s0, exec_lo
	s_delay_alu instid0(VALU_DEP_1) | instskip(NEXT) | instid1(VALU_DEP_1)
	v_sub_nc_u16 v0, v0, v3
	v_cmpx_eq_u16_e32 0, v0
	s_cbranch_execz .LBB15_18
; %bb.17:
	v_mul_hi_u32 v0, 0x88888889, v1
	s_delay_alu instid0(VALU_DEP_1) | instskip(NEXT) | instid1(VALU_DEP_1)
	v_lshrrev_b32_e32 v0, 1, v0
	v_and_b32_e32 v0, 0x7ffffffc, v0
	global_store_b32 v0, v2, s[2:3]
.LBB15_18:
	s_nop 0
	s_sendmsg sendmsg(MSG_DEALLOC_VGPRS)
	s_endpgm
	.section	.rodata,"a",@progbits
	.p2align	6, 0x0
	.amdhsa_kernel _Z18warp_reduce_kernelIiLj60ELj15EENSt9enable_ifIXsr10test_utilsE35device_test_enabled_for_warp_size_vIXT1_EEEvE4typeEPT_S4_
		.amdhsa_group_segment_fixed_size 240
		.amdhsa_private_segment_fixed_size 0
		.amdhsa_kernarg_size 272
		.amdhsa_user_sgpr_count 15
		.amdhsa_user_sgpr_dispatch_ptr 0
		.amdhsa_user_sgpr_queue_ptr 0
		.amdhsa_user_sgpr_kernarg_segment_ptr 1
		.amdhsa_user_sgpr_dispatch_id 0
		.amdhsa_user_sgpr_private_segment_size 0
		.amdhsa_wavefront_size32 1
		.amdhsa_uses_dynamic_stack 0
		.amdhsa_enable_private_segment 0
		.amdhsa_system_sgpr_workgroup_id_x 1
		.amdhsa_system_sgpr_workgroup_id_y 0
		.amdhsa_system_sgpr_workgroup_id_z 0
		.amdhsa_system_sgpr_workgroup_info 0
		.amdhsa_system_vgpr_workitem_id 0
		.amdhsa_next_free_vgpr 8
		.amdhsa_next_free_sgpr 16
		.amdhsa_reserve_vcc 1
		.amdhsa_float_round_mode_32 0
		.amdhsa_float_round_mode_16_64 0
		.amdhsa_float_denorm_mode_32 3
		.amdhsa_float_denorm_mode_16_64 3
		.amdhsa_dx10_clamp 1
		.amdhsa_ieee_mode 1
		.amdhsa_fp16_overflow 0
		.amdhsa_workgroup_processor_mode 1
		.amdhsa_memory_ordered 1
		.amdhsa_forward_progress 0
		.amdhsa_shared_vgpr_count 0
		.amdhsa_exception_fp_ieee_invalid_op 0
		.amdhsa_exception_fp_denorm_src 0
		.amdhsa_exception_fp_ieee_div_zero 0
		.amdhsa_exception_fp_ieee_overflow 0
		.amdhsa_exception_fp_ieee_underflow 0
		.amdhsa_exception_fp_ieee_inexact 0
		.amdhsa_exception_int_div_zero 0
	.end_amdhsa_kernel
	.section	.text._Z18warp_reduce_kernelIiLj60ELj15EENSt9enable_ifIXsr10test_utilsE35device_test_enabled_for_warp_size_vIXT1_EEEvE4typeEPT_S4_,"axG",@progbits,_Z18warp_reduce_kernelIiLj60ELj15EENSt9enable_ifIXsr10test_utilsE35device_test_enabled_for_warp_size_vIXT1_EEEvE4typeEPT_S4_,comdat
.Lfunc_end15:
	.size	_Z18warp_reduce_kernelIiLj60ELj15EENSt9enable_ifIXsr10test_utilsE35device_test_enabled_for_warp_size_vIXT1_EEEvE4typeEPT_S4_, .Lfunc_end15-_Z18warp_reduce_kernelIiLj60ELj15EENSt9enable_ifIXsr10test_utilsE35device_test_enabled_for_warp_size_vIXT1_EEEvE4typeEPT_S4_
                                        ; -- End function
	.section	.AMDGPU.csdata,"",@progbits
; Kernel info:
; codeLenInByte = 456
; NumSgprs: 18
; NumVgprs: 8
; ScratchSize: 0
; MemoryBound: 0
; FloatMode: 240
; IeeeMode: 1
; LDSByteSize: 240 bytes/workgroup (compile time only)
; SGPRBlocks: 2
; VGPRBlocks: 0
; NumSGPRsForWavesPerEU: 18
; NumVGPRsForWavesPerEU: 8
; Occupancy: 16
; WaveLimiterHint : 0
; COMPUTE_PGM_RSRC2:SCRATCH_EN: 0
; COMPUTE_PGM_RSRC2:USER_SGPR: 15
; COMPUTE_PGM_RSRC2:TRAP_HANDLER: 0
; COMPUTE_PGM_RSRC2:TGID_X_EN: 1
; COMPUTE_PGM_RSRC2:TGID_Y_EN: 0
; COMPUTE_PGM_RSRC2:TGID_Z_EN: 0
; COMPUTE_PGM_RSRC2:TIDIG_COMP_CNT: 0
	.section	.text._Z18warp_reduce_kernelIiLj28ELj7EENSt9enable_ifIXsr10test_utilsE35device_test_enabled_for_warp_size_vIXT1_EEEvE4typeEPT_S4_,"axG",@progbits,_Z18warp_reduce_kernelIiLj28ELj7EENSt9enable_ifIXsr10test_utilsE35device_test_enabled_for_warp_size_vIXT1_EEEvE4typeEPT_S4_,comdat
	.protected	_Z18warp_reduce_kernelIiLj28ELj7EENSt9enable_ifIXsr10test_utilsE35device_test_enabled_for_warp_size_vIXT1_EEEvE4typeEPT_S4_ ; -- Begin function _Z18warp_reduce_kernelIiLj28ELj7EENSt9enable_ifIXsr10test_utilsE35device_test_enabled_for_warp_size_vIXT1_EEEvE4typeEPT_S4_
	.globl	_Z18warp_reduce_kernelIiLj28ELj7EENSt9enable_ifIXsr10test_utilsE35device_test_enabled_for_warp_size_vIXT1_EEEvE4typeEPT_S4_
	.p2align	8
	.type	_Z18warp_reduce_kernelIiLj28ELj7EENSt9enable_ifIXsr10test_utilsE35device_test_enabled_for_warp_size_vIXT1_EEEvE4typeEPT_S4_,@function
_Z18warp_reduce_kernelIiLj28ELj7EENSt9enable_ifIXsr10test_utilsE35device_test_enabled_for_warp_size_vIXT1_EEEvE4typeEPT_S4_: ; @_Z18warp_reduce_kernelIiLj28ELj7EENSt9enable_ifIXsr10test_utilsE35device_test_enabled_for_warp_size_vIXT1_EEEvE4typeEPT_S4_
; %bb.0:
	s_clause 0x1
	s_load_b32 s4, s[0:1], 0x1c
	s_load_b128 s[0:3], s[0:1], 0x0
	v_mul_u32_u24_e32 v6, 0x2493, v0
	s_waitcnt lgkmcnt(0)
	s_and_b32 s4, s4, 0xffff
	s_delay_alu instid0(SALU_CYCLE_1) | instskip(SKIP_1) | instid1(VALU_DEP_1)
	v_mad_u64_u32 v[1:2], null, s15, s4, v[0:1]
	v_mov_b32_e32 v2, 0
	v_lshlrev_b64 v[2:3], 2, v[1:2]
	s_delay_alu instid0(VALU_DEP_1) | instskip(NEXT) | instid1(VALU_DEP_2)
	v_add_co_u32 v2, vcc_lo, s0, v2
	v_add_co_ci_u32_e32 v3, vcc_lo, s1, v3, vcc_lo
	global_load_b32 v2, v[2:3], off
	v_mbcnt_lo_u32_b32 v3, -1, 0
	s_delay_alu instid0(VALU_DEP_1) | instskip(NEXT) | instid1(VALU_DEP_1)
	v_mul_hi_u32 v4, 0x24924925, v3
	v_mul_u32_u24_e32 v4, 7, v4
	s_delay_alu instid0(VALU_DEP_1) | instskip(SKIP_1) | instid1(VALU_DEP_2)
	v_sub_nc_u32_e32 v5, v3, v4
	v_lshrrev_b32_e32 v3, 16, v6
	v_lshlrev_b32_e32 v4, 2, v5
	v_cmp_gt_u32_e32 vcc_lo, 3, v5
	s_delay_alu instid0(VALU_DEP_2)
	v_mad_u32_u24 v4, v3, 28, v4
	s_waitcnt vmcnt(0)
	ds_store_b32 v4, v2
	; wave barrier
	s_and_saveexec_b32 s0, vcc_lo
	s_cbranch_execz .LBB16_2
; %bb.1:
	ds_load_2addr_b32 v[6:7], v4 offset1:4
	s_waitcnt lgkmcnt(0)
	v_add_nc_u32_e32 v2, v7, v6
.LBB16_2:
	s_or_b32 exec_lo, exec_lo, s0
	; wave barrier
	s_and_saveexec_b32 s0, vcc_lo
	s_cbranch_execz .LBB16_4
; %bb.3:
	ds_store_b32 v4, v2
.LBB16_4:
	s_or_b32 exec_lo, exec_lo, s0
	v_cmp_gt_u32_e32 vcc_lo, 2, v5
	; wave barrier
	s_and_saveexec_b32 s0, vcc_lo
	s_cbranch_execz .LBB16_6
; %bb.5:
	ds_load_2addr_b32 v[6:7], v4 offset1:2
	s_waitcnt lgkmcnt(0)
	v_add_nc_u32_e32 v2, v7, v6
.LBB16_6:
	s_or_b32 exec_lo, exec_lo, s0
	; wave barrier
	s_and_saveexec_b32 s0, vcc_lo
	s_cbranch_execz .LBB16_8
; %bb.7:
	ds_store_b32 v4, v2
.LBB16_8:
	s_or_b32 exec_lo, exec_lo, s0
	v_cmp_eq_u32_e32 vcc_lo, 0, v5
	; wave barrier
	s_and_saveexec_b32 s0, vcc_lo
	s_cbranch_execz .LBB16_10
; %bb.9:
	v_mul_u32_u24_e32 v2, 28, v3
	ds_load_b32 v5, v4
	ds_load_b32 v2, v2 offset:4
	s_waitcnt lgkmcnt(0)
	v_add_nc_u32_e32 v2, v2, v5
.LBB16_10:
	s_or_b32 exec_lo, exec_lo, s0
	; wave barrier
	s_and_saveexec_b32 s0, vcc_lo
	s_cbranch_execz .LBB16_12
; %bb.11:
	ds_store_b32 v4, v2
.LBB16_12:
	s_or_b32 exec_lo, exec_lo, s0
	v_mul_lo_u16 v3, v3, 7
	; wave barrier
	s_mov_b32 s0, exec_lo
	s_delay_alu instid0(VALU_DEP_1) | instskip(NEXT) | instid1(VALU_DEP_1)
	v_sub_nc_u16 v0, v0, v3
	v_cmpx_eq_u16_e32 0, v0
	s_cbranch_execz .LBB16_14
; %bb.13:
	v_mul_hi_u32 v0, 0x24924925, v1
	s_delay_alu instid0(VALU_DEP_1) | instskip(NEXT) | instid1(VALU_DEP_1)
	v_sub_nc_u32_e32 v1, v1, v0
	v_lshrrev_b32_e32 v1, 1, v1
	s_delay_alu instid0(VALU_DEP_1) | instskip(NEXT) | instid1(VALU_DEP_1)
	v_add_nc_u32_e32 v0, v1, v0
	v_and_b32_e32 v0, -4, v0
	global_store_b32 v0, v2, s[2:3]
.LBB16_14:
	s_nop 0
	s_sendmsg sendmsg(MSG_DEALLOC_VGPRS)
	s_endpgm
	.section	.rodata,"a",@progbits
	.p2align	6, 0x0
	.amdhsa_kernel _Z18warp_reduce_kernelIiLj28ELj7EENSt9enable_ifIXsr10test_utilsE35device_test_enabled_for_warp_size_vIXT1_EEEvE4typeEPT_S4_
		.amdhsa_group_segment_fixed_size 112
		.amdhsa_private_segment_fixed_size 0
		.amdhsa_kernarg_size 272
		.amdhsa_user_sgpr_count 15
		.amdhsa_user_sgpr_dispatch_ptr 0
		.amdhsa_user_sgpr_queue_ptr 0
		.amdhsa_user_sgpr_kernarg_segment_ptr 1
		.amdhsa_user_sgpr_dispatch_id 0
		.amdhsa_user_sgpr_private_segment_size 0
		.amdhsa_wavefront_size32 1
		.amdhsa_uses_dynamic_stack 0
		.amdhsa_enable_private_segment 0
		.amdhsa_system_sgpr_workgroup_id_x 1
		.amdhsa_system_sgpr_workgroup_id_y 0
		.amdhsa_system_sgpr_workgroup_id_z 0
		.amdhsa_system_sgpr_workgroup_info 0
		.amdhsa_system_vgpr_workitem_id 0
		.amdhsa_next_free_vgpr 8
		.amdhsa_next_free_sgpr 16
		.amdhsa_reserve_vcc 1
		.amdhsa_float_round_mode_32 0
		.amdhsa_float_round_mode_16_64 0
		.amdhsa_float_denorm_mode_32 3
		.amdhsa_float_denorm_mode_16_64 3
		.amdhsa_dx10_clamp 1
		.amdhsa_ieee_mode 1
		.amdhsa_fp16_overflow 0
		.amdhsa_workgroup_processor_mode 1
		.amdhsa_memory_ordered 1
		.amdhsa_forward_progress 0
		.amdhsa_shared_vgpr_count 0
		.amdhsa_exception_fp_ieee_invalid_op 0
		.amdhsa_exception_fp_denorm_src 0
		.amdhsa_exception_fp_ieee_div_zero 0
		.amdhsa_exception_fp_ieee_overflow 0
		.amdhsa_exception_fp_ieee_underflow 0
		.amdhsa_exception_fp_ieee_inexact 0
		.amdhsa_exception_int_div_zero 0
	.end_amdhsa_kernel
	.section	.text._Z18warp_reduce_kernelIiLj28ELj7EENSt9enable_ifIXsr10test_utilsE35device_test_enabled_for_warp_size_vIXT1_EEEvE4typeEPT_S4_,"axG",@progbits,_Z18warp_reduce_kernelIiLj28ELj7EENSt9enable_ifIXsr10test_utilsE35device_test_enabled_for_warp_size_vIXT1_EEEvE4typeEPT_S4_,comdat
.Lfunc_end16:
	.size	_Z18warp_reduce_kernelIiLj28ELj7EENSt9enable_ifIXsr10test_utilsE35device_test_enabled_for_warp_size_vIXT1_EEEvE4typeEPT_S4_, .Lfunc_end16-_Z18warp_reduce_kernelIiLj28ELj7EENSt9enable_ifIXsr10test_utilsE35device_test_enabled_for_warp_size_vIXT1_EEEvE4typeEPT_S4_
                                        ; -- End function
	.section	.AMDGPU.csdata,"",@progbits
; Kernel info:
; codeLenInByte = 412
; NumSgprs: 18
; NumVgprs: 8
; ScratchSize: 0
; MemoryBound: 0
; FloatMode: 240
; IeeeMode: 1
; LDSByteSize: 112 bytes/workgroup (compile time only)
; SGPRBlocks: 2
; VGPRBlocks: 0
; NumSGPRsForWavesPerEU: 18
; NumVGPRsForWavesPerEU: 8
; Occupancy: 16
; WaveLimiterHint : 0
; COMPUTE_PGM_RSRC2:SCRATCH_EN: 0
; COMPUTE_PGM_RSRC2:USER_SGPR: 15
; COMPUTE_PGM_RSRC2:TRAP_HANDLER: 0
; COMPUTE_PGM_RSRC2:TGID_X_EN: 1
; COMPUTE_PGM_RSRC2:TGID_Y_EN: 0
; COMPUTE_PGM_RSRC2:TGID_Z_EN: 0
; COMPUTE_PGM_RSRC2:TIDIG_COMP_CNT: 0
	.section	.text._Z18warp_reduce_kernelIiLj63ELj7EENSt9enable_ifIXsr10test_utilsE35device_test_enabled_for_warp_size_vIXT1_EEEvE4typeEPT_S4_,"axG",@progbits,_Z18warp_reduce_kernelIiLj63ELj7EENSt9enable_ifIXsr10test_utilsE35device_test_enabled_for_warp_size_vIXT1_EEEvE4typeEPT_S4_,comdat
	.protected	_Z18warp_reduce_kernelIiLj63ELj7EENSt9enable_ifIXsr10test_utilsE35device_test_enabled_for_warp_size_vIXT1_EEEvE4typeEPT_S4_ ; -- Begin function _Z18warp_reduce_kernelIiLj63ELj7EENSt9enable_ifIXsr10test_utilsE35device_test_enabled_for_warp_size_vIXT1_EEEvE4typeEPT_S4_
	.globl	_Z18warp_reduce_kernelIiLj63ELj7EENSt9enable_ifIXsr10test_utilsE35device_test_enabled_for_warp_size_vIXT1_EEEvE4typeEPT_S4_
	.p2align	8
	.type	_Z18warp_reduce_kernelIiLj63ELj7EENSt9enable_ifIXsr10test_utilsE35device_test_enabled_for_warp_size_vIXT1_EEEvE4typeEPT_S4_,@function
_Z18warp_reduce_kernelIiLj63ELj7EENSt9enable_ifIXsr10test_utilsE35device_test_enabled_for_warp_size_vIXT1_EEEvE4typeEPT_S4_: ; @_Z18warp_reduce_kernelIiLj63ELj7EENSt9enable_ifIXsr10test_utilsE35device_test_enabled_for_warp_size_vIXT1_EEEvE4typeEPT_S4_
; %bb.0:
	s_clause 0x1
	s_load_b32 s4, s[0:1], 0x1c
	s_load_b128 s[0:3], s[0:1], 0x0
	v_mul_u32_u24_e32 v6, 0x2493, v0
	s_waitcnt lgkmcnt(0)
	s_and_b32 s4, s4, 0xffff
	s_delay_alu instid0(SALU_CYCLE_1) | instskip(SKIP_1) | instid1(VALU_DEP_1)
	v_mad_u64_u32 v[1:2], null, s15, s4, v[0:1]
	v_mov_b32_e32 v2, 0
	v_lshlrev_b64 v[2:3], 2, v[1:2]
	s_delay_alu instid0(VALU_DEP_1) | instskip(NEXT) | instid1(VALU_DEP_2)
	v_add_co_u32 v2, vcc_lo, s0, v2
	v_add_co_ci_u32_e32 v3, vcc_lo, s1, v3, vcc_lo
	global_load_b32 v2, v[2:3], off
	v_mbcnt_lo_u32_b32 v3, -1, 0
	s_delay_alu instid0(VALU_DEP_1) | instskip(NEXT) | instid1(VALU_DEP_1)
	v_mul_hi_u32 v4, 0x24924925, v3
	v_mul_u32_u24_e32 v4, 7, v4
	s_delay_alu instid0(VALU_DEP_1) | instskip(SKIP_1) | instid1(VALU_DEP_2)
	v_sub_nc_u32_e32 v5, v3, v4
	v_lshrrev_b32_e32 v3, 16, v6
	v_lshlrev_b32_e32 v4, 2, v5
	v_cmp_gt_u32_e32 vcc_lo, 3, v5
	s_delay_alu instid0(VALU_DEP_2)
	v_mad_u32_u24 v4, v3, 28, v4
	s_waitcnt vmcnt(0)
	ds_store_b32 v4, v2
	; wave barrier
	s_and_saveexec_b32 s0, vcc_lo
	s_cbranch_execz .LBB17_2
; %bb.1:
	ds_load_2addr_b32 v[6:7], v4 offset1:4
	s_waitcnt lgkmcnt(0)
	v_add_nc_u32_e32 v2, v7, v6
.LBB17_2:
	s_or_b32 exec_lo, exec_lo, s0
	; wave barrier
	s_and_saveexec_b32 s0, vcc_lo
	s_cbranch_execz .LBB17_4
; %bb.3:
	ds_store_b32 v4, v2
.LBB17_4:
	s_or_b32 exec_lo, exec_lo, s0
	v_cmp_gt_u32_e32 vcc_lo, 2, v5
	; wave barrier
	s_and_saveexec_b32 s0, vcc_lo
	s_cbranch_execz .LBB17_6
; %bb.5:
	ds_load_2addr_b32 v[6:7], v4 offset1:2
	s_waitcnt lgkmcnt(0)
	v_add_nc_u32_e32 v2, v7, v6
.LBB17_6:
	s_or_b32 exec_lo, exec_lo, s0
	; wave barrier
	s_and_saveexec_b32 s0, vcc_lo
	s_cbranch_execz .LBB17_8
; %bb.7:
	ds_store_b32 v4, v2
.LBB17_8:
	s_or_b32 exec_lo, exec_lo, s0
	v_cmp_eq_u32_e32 vcc_lo, 0, v5
	; wave barrier
	s_and_saveexec_b32 s0, vcc_lo
	s_cbranch_execz .LBB17_10
; %bb.9:
	v_mul_u32_u24_e32 v2, 28, v3
	ds_load_b32 v5, v4
	ds_load_b32 v2, v2 offset:4
	s_waitcnt lgkmcnt(0)
	v_add_nc_u32_e32 v2, v2, v5
.LBB17_10:
	s_or_b32 exec_lo, exec_lo, s0
	; wave barrier
	s_and_saveexec_b32 s0, vcc_lo
	s_cbranch_execz .LBB17_12
; %bb.11:
	ds_store_b32 v4, v2
.LBB17_12:
	s_or_b32 exec_lo, exec_lo, s0
	v_mul_lo_u16 v3, v3, 7
	; wave barrier
	s_mov_b32 s0, exec_lo
	s_delay_alu instid0(VALU_DEP_1) | instskip(NEXT) | instid1(VALU_DEP_1)
	v_sub_nc_u16 v0, v0, v3
	v_cmpx_eq_u16_e32 0, v0
	s_cbranch_execz .LBB17_14
; %bb.13:
	v_mul_hi_u32 v0, 0x24924925, v1
	s_delay_alu instid0(VALU_DEP_1) | instskip(NEXT) | instid1(VALU_DEP_1)
	v_sub_nc_u32_e32 v1, v1, v0
	v_lshrrev_b32_e32 v1, 1, v1
	s_delay_alu instid0(VALU_DEP_1) | instskip(NEXT) | instid1(VALU_DEP_1)
	v_add_nc_u32_e32 v0, v1, v0
	v_and_b32_e32 v0, -4, v0
	global_store_b32 v0, v2, s[2:3]
.LBB17_14:
	s_nop 0
	s_sendmsg sendmsg(MSG_DEALLOC_VGPRS)
	s_endpgm
	.section	.rodata,"a",@progbits
	.p2align	6, 0x0
	.amdhsa_kernel _Z18warp_reduce_kernelIiLj63ELj7EENSt9enable_ifIXsr10test_utilsE35device_test_enabled_for_warp_size_vIXT1_EEEvE4typeEPT_S4_
		.amdhsa_group_segment_fixed_size 252
		.amdhsa_private_segment_fixed_size 0
		.amdhsa_kernarg_size 272
		.amdhsa_user_sgpr_count 15
		.amdhsa_user_sgpr_dispatch_ptr 0
		.amdhsa_user_sgpr_queue_ptr 0
		.amdhsa_user_sgpr_kernarg_segment_ptr 1
		.amdhsa_user_sgpr_dispatch_id 0
		.amdhsa_user_sgpr_private_segment_size 0
		.amdhsa_wavefront_size32 1
		.amdhsa_uses_dynamic_stack 0
		.amdhsa_enable_private_segment 0
		.amdhsa_system_sgpr_workgroup_id_x 1
		.amdhsa_system_sgpr_workgroup_id_y 0
		.amdhsa_system_sgpr_workgroup_id_z 0
		.amdhsa_system_sgpr_workgroup_info 0
		.amdhsa_system_vgpr_workitem_id 0
		.amdhsa_next_free_vgpr 8
		.amdhsa_next_free_sgpr 16
		.amdhsa_reserve_vcc 1
		.amdhsa_float_round_mode_32 0
		.amdhsa_float_round_mode_16_64 0
		.amdhsa_float_denorm_mode_32 3
		.amdhsa_float_denorm_mode_16_64 3
		.amdhsa_dx10_clamp 1
		.amdhsa_ieee_mode 1
		.amdhsa_fp16_overflow 0
		.amdhsa_workgroup_processor_mode 1
		.amdhsa_memory_ordered 1
		.amdhsa_forward_progress 0
		.amdhsa_shared_vgpr_count 0
		.amdhsa_exception_fp_ieee_invalid_op 0
		.amdhsa_exception_fp_denorm_src 0
		.amdhsa_exception_fp_ieee_div_zero 0
		.amdhsa_exception_fp_ieee_overflow 0
		.amdhsa_exception_fp_ieee_underflow 0
		.amdhsa_exception_fp_ieee_inexact 0
		.amdhsa_exception_int_div_zero 0
	.end_amdhsa_kernel
	.section	.text._Z18warp_reduce_kernelIiLj63ELj7EENSt9enable_ifIXsr10test_utilsE35device_test_enabled_for_warp_size_vIXT1_EEEvE4typeEPT_S4_,"axG",@progbits,_Z18warp_reduce_kernelIiLj63ELj7EENSt9enable_ifIXsr10test_utilsE35device_test_enabled_for_warp_size_vIXT1_EEEvE4typeEPT_S4_,comdat
.Lfunc_end17:
	.size	_Z18warp_reduce_kernelIiLj63ELj7EENSt9enable_ifIXsr10test_utilsE35device_test_enabled_for_warp_size_vIXT1_EEEvE4typeEPT_S4_, .Lfunc_end17-_Z18warp_reduce_kernelIiLj63ELj7EENSt9enable_ifIXsr10test_utilsE35device_test_enabled_for_warp_size_vIXT1_EEEvE4typeEPT_S4_
                                        ; -- End function
	.section	.AMDGPU.csdata,"",@progbits
; Kernel info:
; codeLenInByte = 412
; NumSgprs: 18
; NumVgprs: 8
; ScratchSize: 0
; MemoryBound: 0
; FloatMode: 240
; IeeeMode: 1
; LDSByteSize: 252 bytes/workgroup (compile time only)
; SGPRBlocks: 2
; VGPRBlocks: 0
; NumSGPRsForWavesPerEU: 18
; NumVGPRsForWavesPerEU: 8
; Occupancy: 16
; WaveLimiterHint : 0
; COMPUTE_PGM_RSRC2:SCRATCH_EN: 0
; COMPUTE_PGM_RSRC2:USER_SGPR: 15
; COMPUTE_PGM_RSRC2:TRAP_HANDLER: 0
; COMPUTE_PGM_RSRC2:TGID_X_EN: 1
; COMPUTE_PGM_RSRC2:TGID_Y_EN: 0
; COMPUTE_PGM_RSRC2:TGID_Z_EN: 0
; COMPUTE_PGM_RSRC2:TIDIG_COMP_CNT: 0
	.section	.text._Z18warp_reduce_kernelIiLj30ELj3EENSt9enable_ifIXsr10test_utilsE35device_test_enabled_for_warp_size_vIXT1_EEEvE4typeEPT_S4_,"axG",@progbits,_Z18warp_reduce_kernelIiLj30ELj3EENSt9enable_ifIXsr10test_utilsE35device_test_enabled_for_warp_size_vIXT1_EEEvE4typeEPT_S4_,comdat
	.protected	_Z18warp_reduce_kernelIiLj30ELj3EENSt9enable_ifIXsr10test_utilsE35device_test_enabled_for_warp_size_vIXT1_EEEvE4typeEPT_S4_ ; -- Begin function _Z18warp_reduce_kernelIiLj30ELj3EENSt9enable_ifIXsr10test_utilsE35device_test_enabled_for_warp_size_vIXT1_EEEvE4typeEPT_S4_
	.globl	_Z18warp_reduce_kernelIiLj30ELj3EENSt9enable_ifIXsr10test_utilsE35device_test_enabled_for_warp_size_vIXT1_EEEvE4typeEPT_S4_
	.p2align	8
	.type	_Z18warp_reduce_kernelIiLj30ELj3EENSt9enable_ifIXsr10test_utilsE35device_test_enabled_for_warp_size_vIXT1_EEEvE4typeEPT_S4_,@function
_Z18warp_reduce_kernelIiLj30ELj3EENSt9enable_ifIXsr10test_utilsE35device_test_enabled_for_warp_size_vIXT1_EEEvE4typeEPT_S4_: ; @_Z18warp_reduce_kernelIiLj30ELj3EENSt9enable_ifIXsr10test_utilsE35device_test_enabled_for_warp_size_vIXT1_EEEvE4typeEPT_S4_
; %bb.0:
	s_clause 0x1
	s_load_b32 s4, s[0:1], 0x1c
	s_load_b128 s[0:3], s[0:1], 0x0
	v_mul_u32_u24_e32 v5, 0x5556, v0
	s_waitcnt lgkmcnt(0)
	s_and_b32 s4, s4, 0xffff
	s_delay_alu instid0(SALU_CYCLE_1) | instskip(SKIP_1) | instid1(VALU_DEP_1)
	v_mad_u64_u32 v[1:2], null, s15, s4, v[0:1]
	v_mov_b32_e32 v2, 0
	v_lshlrev_b64 v[2:3], 2, v[1:2]
	s_delay_alu instid0(VALU_DEP_1) | instskip(NEXT) | instid1(VALU_DEP_2)
	v_add_co_u32 v2, vcc_lo, s0, v2
	v_add_co_ci_u32_e32 v3, vcc_lo, s1, v3, vcc_lo
	global_load_b32 v2, v[2:3], off
	v_mbcnt_lo_u32_b32 v3, -1, 0
	s_delay_alu instid0(VALU_DEP_1) | instskip(NEXT) | instid1(VALU_DEP_1)
	v_mul_hi_u32 v4, 0x55555556, v3
	v_mul_u32_u24_e32 v4, 3, v4
	s_delay_alu instid0(VALU_DEP_1) | instskip(SKIP_1) | instid1(VALU_DEP_2)
	v_sub_nc_u32_e32 v6, v3, v4
	v_lshrrev_b32_e32 v3, 16, v5
	v_lshlrev_b32_e32 v4, 2, v6
	s_delay_alu instid0(VALU_DEP_2) | instskip(SKIP_1) | instid1(VALU_DEP_3)
	v_mul_u32_u24_e32 v5, 12, v3
	v_cmp_eq_u32_e32 vcc_lo, 0, v6
	v_mad_u32_u24 v4, v3, 12, v4
	s_waitcnt vmcnt(0)
	ds_store_b32 v4, v2
	; wave barrier
	s_and_saveexec_b32 s0, vcc_lo
	s_cbranch_execz .LBB18_2
; %bb.1:
	ds_load_b32 v2, v4
	ds_load_b32 v6, v5 offset:8
	s_waitcnt lgkmcnt(0)
	v_add_nc_u32_e32 v2, v6, v2
.LBB18_2:
	s_or_b32 exec_lo, exec_lo, s0
	; wave barrier
	s_and_saveexec_b32 s0, vcc_lo
	s_cbranch_execz .LBB18_4
; %bb.3:
	ds_store_b32 v4, v2
.LBB18_4:
	s_or_b32 exec_lo, exec_lo, s0
	; wave barrier
	s_and_saveexec_b32 s0, vcc_lo
	s_cbranch_execz .LBB18_6
; %bb.5:
	ds_load_b32 v2, v4
	ds_load_b32 v5, v5 offset:4
	s_waitcnt lgkmcnt(0)
	v_add_nc_u32_e32 v2, v5, v2
.LBB18_6:
	s_or_b32 exec_lo, exec_lo, s0
	; wave barrier
	s_and_saveexec_b32 s0, vcc_lo
	s_cbranch_execz .LBB18_8
; %bb.7:
	ds_store_b32 v4, v2
.LBB18_8:
	s_or_b32 exec_lo, exec_lo, s0
	v_mul_lo_u16 v3, v3, 3
	; wave barrier
	s_mov_b32 s0, exec_lo
	s_delay_alu instid0(VALU_DEP_1) | instskip(NEXT) | instid1(VALU_DEP_1)
	v_sub_nc_u16 v0, v0, v3
	v_cmpx_eq_u16_e32 0, v0
	s_cbranch_execz .LBB18_10
; %bb.9:
	v_mul_hi_u32 v0, 0xaaaaaaab, v1
	v_mov_b32_e32 v1, 0
	s_delay_alu instid0(VALU_DEP_2) | instskip(NEXT) | instid1(VALU_DEP_1)
	v_lshrrev_b32_e32 v0, 1, v0
	v_lshlrev_b64 v[0:1], 2, v[0:1]
	s_delay_alu instid0(VALU_DEP_1) | instskip(NEXT) | instid1(VALU_DEP_2)
	v_add_co_u32 v0, vcc_lo, s2, v0
	v_add_co_ci_u32_e32 v1, vcc_lo, s3, v1, vcc_lo
	global_store_b32 v[0:1], v2, off
.LBB18_10:
	s_nop 0
	s_sendmsg sendmsg(MSG_DEALLOC_VGPRS)
	s_endpgm
	.section	.rodata,"a",@progbits
	.p2align	6, 0x0
	.amdhsa_kernel _Z18warp_reduce_kernelIiLj30ELj3EENSt9enable_ifIXsr10test_utilsE35device_test_enabled_for_warp_size_vIXT1_EEEvE4typeEPT_S4_
		.amdhsa_group_segment_fixed_size 120
		.amdhsa_private_segment_fixed_size 0
		.amdhsa_kernarg_size 272
		.amdhsa_user_sgpr_count 15
		.amdhsa_user_sgpr_dispatch_ptr 0
		.amdhsa_user_sgpr_queue_ptr 0
		.amdhsa_user_sgpr_kernarg_segment_ptr 1
		.amdhsa_user_sgpr_dispatch_id 0
		.amdhsa_user_sgpr_private_segment_size 0
		.amdhsa_wavefront_size32 1
		.amdhsa_uses_dynamic_stack 0
		.amdhsa_enable_private_segment 0
		.amdhsa_system_sgpr_workgroup_id_x 1
		.amdhsa_system_sgpr_workgroup_id_y 0
		.amdhsa_system_sgpr_workgroup_id_z 0
		.amdhsa_system_sgpr_workgroup_info 0
		.amdhsa_system_vgpr_workitem_id 0
		.amdhsa_next_free_vgpr 7
		.amdhsa_next_free_sgpr 16
		.amdhsa_reserve_vcc 1
		.amdhsa_float_round_mode_32 0
		.amdhsa_float_round_mode_16_64 0
		.amdhsa_float_denorm_mode_32 3
		.amdhsa_float_denorm_mode_16_64 3
		.amdhsa_dx10_clamp 1
		.amdhsa_ieee_mode 1
		.amdhsa_fp16_overflow 0
		.amdhsa_workgroup_processor_mode 1
		.amdhsa_memory_ordered 1
		.amdhsa_forward_progress 0
		.amdhsa_shared_vgpr_count 0
		.amdhsa_exception_fp_ieee_invalid_op 0
		.amdhsa_exception_fp_denorm_src 0
		.amdhsa_exception_fp_ieee_div_zero 0
		.amdhsa_exception_fp_ieee_overflow 0
		.amdhsa_exception_fp_ieee_underflow 0
		.amdhsa_exception_fp_ieee_inexact 0
		.amdhsa_exception_int_div_zero 0
	.end_amdhsa_kernel
	.section	.text._Z18warp_reduce_kernelIiLj30ELj3EENSt9enable_ifIXsr10test_utilsE35device_test_enabled_for_warp_size_vIXT1_EEEvE4typeEPT_S4_,"axG",@progbits,_Z18warp_reduce_kernelIiLj30ELj3EENSt9enable_ifIXsr10test_utilsE35device_test_enabled_for_warp_size_vIXT1_EEEvE4typeEPT_S4_,comdat
.Lfunc_end18:
	.size	_Z18warp_reduce_kernelIiLj30ELj3EENSt9enable_ifIXsr10test_utilsE35device_test_enabled_for_warp_size_vIXT1_EEEvE4typeEPT_S4_, .Lfunc_end18-_Z18warp_reduce_kernelIiLj30ELj3EENSt9enable_ifIXsr10test_utilsE35device_test_enabled_for_warp_size_vIXT1_EEEvE4typeEPT_S4_
                                        ; -- End function
	.section	.AMDGPU.csdata,"",@progbits
; Kernel info:
; codeLenInByte = 376
; NumSgprs: 18
; NumVgprs: 7
; ScratchSize: 0
; MemoryBound: 0
; FloatMode: 240
; IeeeMode: 1
; LDSByteSize: 120 bytes/workgroup (compile time only)
; SGPRBlocks: 2
; VGPRBlocks: 0
; NumSGPRsForWavesPerEU: 18
; NumVGPRsForWavesPerEU: 7
; Occupancy: 16
; WaveLimiterHint : 0
; COMPUTE_PGM_RSRC2:SCRATCH_EN: 0
; COMPUTE_PGM_RSRC2:USER_SGPR: 15
; COMPUTE_PGM_RSRC2:TRAP_HANDLER: 0
; COMPUTE_PGM_RSRC2:TGID_X_EN: 1
; COMPUTE_PGM_RSRC2:TGID_Y_EN: 0
; COMPUTE_PGM_RSRC2:TGID_Z_EN: 0
; COMPUTE_PGM_RSRC2:TIDIG_COMP_CNT: 0
	.section	.text._Z18warp_reduce_kernelIiLj63ELj3EENSt9enable_ifIXsr10test_utilsE35device_test_enabled_for_warp_size_vIXT1_EEEvE4typeEPT_S4_,"axG",@progbits,_Z18warp_reduce_kernelIiLj63ELj3EENSt9enable_ifIXsr10test_utilsE35device_test_enabled_for_warp_size_vIXT1_EEEvE4typeEPT_S4_,comdat
	.protected	_Z18warp_reduce_kernelIiLj63ELj3EENSt9enable_ifIXsr10test_utilsE35device_test_enabled_for_warp_size_vIXT1_EEEvE4typeEPT_S4_ ; -- Begin function _Z18warp_reduce_kernelIiLj63ELj3EENSt9enable_ifIXsr10test_utilsE35device_test_enabled_for_warp_size_vIXT1_EEEvE4typeEPT_S4_
	.globl	_Z18warp_reduce_kernelIiLj63ELj3EENSt9enable_ifIXsr10test_utilsE35device_test_enabled_for_warp_size_vIXT1_EEEvE4typeEPT_S4_
	.p2align	8
	.type	_Z18warp_reduce_kernelIiLj63ELj3EENSt9enable_ifIXsr10test_utilsE35device_test_enabled_for_warp_size_vIXT1_EEEvE4typeEPT_S4_,@function
_Z18warp_reduce_kernelIiLj63ELj3EENSt9enable_ifIXsr10test_utilsE35device_test_enabled_for_warp_size_vIXT1_EEEvE4typeEPT_S4_: ; @_Z18warp_reduce_kernelIiLj63ELj3EENSt9enable_ifIXsr10test_utilsE35device_test_enabled_for_warp_size_vIXT1_EEEvE4typeEPT_S4_
; %bb.0:
	s_clause 0x1
	s_load_b32 s4, s[0:1], 0x1c
	s_load_b128 s[0:3], s[0:1], 0x0
	v_mul_u32_u24_e32 v5, 0x5556, v0
	s_waitcnt lgkmcnt(0)
	s_and_b32 s4, s4, 0xffff
	s_delay_alu instid0(SALU_CYCLE_1) | instskip(SKIP_1) | instid1(VALU_DEP_1)
	v_mad_u64_u32 v[1:2], null, s15, s4, v[0:1]
	v_mov_b32_e32 v2, 0
	v_lshlrev_b64 v[2:3], 2, v[1:2]
	s_delay_alu instid0(VALU_DEP_1) | instskip(NEXT) | instid1(VALU_DEP_2)
	v_add_co_u32 v2, vcc_lo, s0, v2
	v_add_co_ci_u32_e32 v3, vcc_lo, s1, v3, vcc_lo
	global_load_b32 v2, v[2:3], off
	v_mbcnt_lo_u32_b32 v3, -1, 0
	s_delay_alu instid0(VALU_DEP_1) | instskip(NEXT) | instid1(VALU_DEP_1)
	v_mul_hi_u32 v4, 0x55555556, v3
	v_mul_u32_u24_e32 v4, 3, v4
	s_delay_alu instid0(VALU_DEP_1) | instskip(SKIP_1) | instid1(VALU_DEP_2)
	v_sub_nc_u32_e32 v6, v3, v4
	v_lshrrev_b32_e32 v3, 16, v5
	v_lshlrev_b32_e32 v4, 2, v6
	s_delay_alu instid0(VALU_DEP_2) | instskip(SKIP_1) | instid1(VALU_DEP_3)
	v_mul_u32_u24_e32 v5, 12, v3
	v_cmp_eq_u32_e32 vcc_lo, 0, v6
	v_mad_u32_u24 v4, v3, 12, v4
	s_waitcnt vmcnt(0)
	ds_store_b32 v4, v2
	; wave barrier
	s_and_saveexec_b32 s0, vcc_lo
	s_cbranch_execz .LBB19_2
; %bb.1:
	ds_load_b32 v2, v4
	ds_load_b32 v6, v5 offset:8
	s_waitcnt lgkmcnt(0)
	v_add_nc_u32_e32 v2, v6, v2
.LBB19_2:
	s_or_b32 exec_lo, exec_lo, s0
	; wave barrier
	s_and_saveexec_b32 s0, vcc_lo
	s_cbranch_execz .LBB19_4
; %bb.3:
	ds_store_b32 v4, v2
.LBB19_4:
	s_or_b32 exec_lo, exec_lo, s0
	; wave barrier
	s_and_saveexec_b32 s0, vcc_lo
	s_cbranch_execz .LBB19_6
; %bb.5:
	ds_load_b32 v2, v4
	ds_load_b32 v5, v5 offset:4
	s_waitcnt lgkmcnt(0)
	v_add_nc_u32_e32 v2, v5, v2
.LBB19_6:
	s_or_b32 exec_lo, exec_lo, s0
	; wave barrier
	s_and_saveexec_b32 s0, vcc_lo
	s_cbranch_execz .LBB19_8
; %bb.7:
	ds_store_b32 v4, v2
.LBB19_8:
	s_or_b32 exec_lo, exec_lo, s0
	v_mul_lo_u16 v3, v3, 3
	; wave barrier
	s_mov_b32 s0, exec_lo
	s_delay_alu instid0(VALU_DEP_1) | instskip(NEXT) | instid1(VALU_DEP_1)
	v_sub_nc_u16 v0, v0, v3
	v_cmpx_eq_u16_e32 0, v0
	s_cbranch_execz .LBB19_10
; %bb.9:
	v_mul_hi_u32 v0, 0xaaaaaaab, v1
	v_mov_b32_e32 v1, 0
	s_delay_alu instid0(VALU_DEP_2) | instskip(NEXT) | instid1(VALU_DEP_1)
	v_lshrrev_b32_e32 v0, 1, v0
	v_lshlrev_b64 v[0:1], 2, v[0:1]
	s_delay_alu instid0(VALU_DEP_1) | instskip(NEXT) | instid1(VALU_DEP_2)
	v_add_co_u32 v0, vcc_lo, s2, v0
	v_add_co_ci_u32_e32 v1, vcc_lo, s3, v1, vcc_lo
	global_store_b32 v[0:1], v2, off
.LBB19_10:
	s_nop 0
	s_sendmsg sendmsg(MSG_DEALLOC_VGPRS)
	s_endpgm
	.section	.rodata,"a",@progbits
	.p2align	6, 0x0
	.amdhsa_kernel _Z18warp_reduce_kernelIiLj63ELj3EENSt9enable_ifIXsr10test_utilsE35device_test_enabled_for_warp_size_vIXT1_EEEvE4typeEPT_S4_
		.amdhsa_group_segment_fixed_size 252
		.amdhsa_private_segment_fixed_size 0
		.amdhsa_kernarg_size 272
		.amdhsa_user_sgpr_count 15
		.amdhsa_user_sgpr_dispatch_ptr 0
		.amdhsa_user_sgpr_queue_ptr 0
		.amdhsa_user_sgpr_kernarg_segment_ptr 1
		.amdhsa_user_sgpr_dispatch_id 0
		.amdhsa_user_sgpr_private_segment_size 0
		.amdhsa_wavefront_size32 1
		.amdhsa_uses_dynamic_stack 0
		.amdhsa_enable_private_segment 0
		.amdhsa_system_sgpr_workgroup_id_x 1
		.amdhsa_system_sgpr_workgroup_id_y 0
		.amdhsa_system_sgpr_workgroup_id_z 0
		.amdhsa_system_sgpr_workgroup_info 0
		.amdhsa_system_vgpr_workitem_id 0
		.amdhsa_next_free_vgpr 7
		.amdhsa_next_free_sgpr 16
		.amdhsa_reserve_vcc 1
		.amdhsa_float_round_mode_32 0
		.amdhsa_float_round_mode_16_64 0
		.amdhsa_float_denorm_mode_32 3
		.amdhsa_float_denorm_mode_16_64 3
		.amdhsa_dx10_clamp 1
		.amdhsa_ieee_mode 1
		.amdhsa_fp16_overflow 0
		.amdhsa_workgroup_processor_mode 1
		.amdhsa_memory_ordered 1
		.amdhsa_forward_progress 0
		.amdhsa_shared_vgpr_count 0
		.amdhsa_exception_fp_ieee_invalid_op 0
		.amdhsa_exception_fp_denorm_src 0
		.amdhsa_exception_fp_ieee_div_zero 0
		.amdhsa_exception_fp_ieee_overflow 0
		.amdhsa_exception_fp_ieee_underflow 0
		.amdhsa_exception_fp_ieee_inexact 0
		.amdhsa_exception_int_div_zero 0
	.end_amdhsa_kernel
	.section	.text._Z18warp_reduce_kernelIiLj63ELj3EENSt9enable_ifIXsr10test_utilsE35device_test_enabled_for_warp_size_vIXT1_EEEvE4typeEPT_S4_,"axG",@progbits,_Z18warp_reduce_kernelIiLj63ELj3EENSt9enable_ifIXsr10test_utilsE35device_test_enabled_for_warp_size_vIXT1_EEEvE4typeEPT_S4_,comdat
.Lfunc_end19:
	.size	_Z18warp_reduce_kernelIiLj63ELj3EENSt9enable_ifIXsr10test_utilsE35device_test_enabled_for_warp_size_vIXT1_EEEvE4typeEPT_S4_, .Lfunc_end19-_Z18warp_reduce_kernelIiLj63ELj3EENSt9enable_ifIXsr10test_utilsE35device_test_enabled_for_warp_size_vIXT1_EEEvE4typeEPT_S4_
                                        ; -- End function
	.section	.AMDGPU.csdata,"",@progbits
; Kernel info:
; codeLenInByte = 376
; NumSgprs: 18
; NumVgprs: 7
; ScratchSize: 0
; MemoryBound: 0
; FloatMode: 240
; IeeeMode: 1
; LDSByteSize: 252 bytes/workgroup (compile time only)
; SGPRBlocks: 2
; VGPRBlocks: 0
; NumSGPRsForWavesPerEU: 18
; NumVGPRsForWavesPerEU: 7
; Occupancy: 16
; WaveLimiterHint : 0
; COMPUTE_PGM_RSRC2:SCRATCH_EN: 0
; COMPUTE_PGM_RSRC2:USER_SGPR: 15
; COMPUTE_PGM_RSRC2:TRAP_HANDLER: 0
; COMPUTE_PGM_RSRC2:TGID_X_EN: 1
; COMPUTE_PGM_RSRC2:TGID_Y_EN: 0
; COMPUTE_PGM_RSRC2:TGID_Z_EN: 0
; COMPUTE_PGM_RSRC2:TIDIG_COMP_CNT: 0
	.section	.text._Z18warp_reduce_kernelI12hip_bfloat16Lj256ELj64EENSt9enable_ifIXntsr10test_utilsE35device_test_enabled_for_warp_size_vIXT1_EEEvE4typeEPT_S5_,"axG",@progbits,_Z18warp_reduce_kernelI12hip_bfloat16Lj256ELj64EENSt9enable_ifIXntsr10test_utilsE35device_test_enabled_for_warp_size_vIXT1_EEEvE4typeEPT_S5_,comdat
	.protected	_Z18warp_reduce_kernelI12hip_bfloat16Lj256ELj64EENSt9enable_ifIXntsr10test_utilsE35device_test_enabled_for_warp_size_vIXT1_EEEvE4typeEPT_S5_ ; -- Begin function _Z18warp_reduce_kernelI12hip_bfloat16Lj256ELj64EENSt9enable_ifIXntsr10test_utilsE35device_test_enabled_for_warp_size_vIXT1_EEEvE4typeEPT_S5_
	.globl	_Z18warp_reduce_kernelI12hip_bfloat16Lj256ELj64EENSt9enable_ifIXntsr10test_utilsE35device_test_enabled_for_warp_size_vIXT1_EEEvE4typeEPT_S5_
	.p2align	8
	.type	_Z18warp_reduce_kernelI12hip_bfloat16Lj256ELj64EENSt9enable_ifIXntsr10test_utilsE35device_test_enabled_for_warp_size_vIXT1_EEEvE4typeEPT_S5_,@function
_Z18warp_reduce_kernelI12hip_bfloat16Lj256ELj64EENSt9enable_ifIXntsr10test_utilsE35device_test_enabled_for_warp_size_vIXT1_EEEvE4typeEPT_S5_: ; @_Z18warp_reduce_kernelI12hip_bfloat16Lj256ELj64EENSt9enable_ifIXntsr10test_utilsE35device_test_enabled_for_warp_size_vIXT1_EEEvE4typeEPT_S5_
; %bb.0:
	s_endpgm
	.section	.rodata,"a",@progbits
	.p2align	6, 0x0
	.amdhsa_kernel _Z18warp_reduce_kernelI12hip_bfloat16Lj256ELj64EENSt9enable_ifIXntsr10test_utilsE35device_test_enabled_for_warp_size_vIXT1_EEEvE4typeEPT_S5_
		.amdhsa_group_segment_fixed_size 0
		.amdhsa_private_segment_fixed_size 0
		.amdhsa_kernarg_size 16
		.amdhsa_user_sgpr_count 15
		.amdhsa_user_sgpr_dispatch_ptr 0
		.amdhsa_user_sgpr_queue_ptr 0
		.amdhsa_user_sgpr_kernarg_segment_ptr 1
		.amdhsa_user_sgpr_dispatch_id 0
		.amdhsa_user_sgpr_private_segment_size 0
		.amdhsa_wavefront_size32 1
		.amdhsa_uses_dynamic_stack 0
		.amdhsa_enable_private_segment 0
		.amdhsa_system_sgpr_workgroup_id_x 1
		.amdhsa_system_sgpr_workgroup_id_y 0
		.amdhsa_system_sgpr_workgroup_id_z 0
		.amdhsa_system_sgpr_workgroup_info 0
		.amdhsa_system_vgpr_workitem_id 0
		.amdhsa_next_free_vgpr 1
		.amdhsa_next_free_sgpr 1
		.amdhsa_reserve_vcc 0
		.amdhsa_float_round_mode_32 0
		.amdhsa_float_round_mode_16_64 0
		.amdhsa_float_denorm_mode_32 3
		.amdhsa_float_denorm_mode_16_64 3
		.amdhsa_dx10_clamp 1
		.amdhsa_ieee_mode 1
		.amdhsa_fp16_overflow 0
		.amdhsa_workgroup_processor_mode 1
		.amdhsa_memory_ordered 1
		.amdhsa_forward_progress 0
		.amdhsa_shared_vgpr_count 0
		.amdhsa_exception_fp_ieee_invalid_op 0
		.amdhsa_exception_fp_denorm_src 0
		.amdhsa_exception_fp_ieee_div_zero 0
		.amdhsa_exception_fp_ieee_overflow 0
		.amdhsa_exception_fp_ieee_underflow 0
		.amdhsa_exception_fp_ieee_inexact 0
		.amdhsa_exception_int_div_zero 0
	.end_amdhsa_kernel
	.section	.text._Z18warp_reduce_kernelI12hip_bfloat16Lj256ELj64EENSt9enable_ifIXntsr10test_utilsE35device_test_enabled_for_warp_size_vIXT1_EEEvE4typeEPT_S5_,"axG",@progbits,_Z18warp_reduce_kernelI12hip_bfloat16Lj256ELj64EENSt9enable_ifIXntsr10test_utilsE35device_test_enabled_for_warp_size_vIXT1_EEEvE4typeEPT_S5_,comdat
.Lfunc_end20:
	.size	_Z18warp_reduce_kernelI12hip_bfloat16Lj256ELj64EENSt9enable_ifIXntsr10test_utilsE35device_test_enabled_for_warp_size_vIXT1_EEEvE4typeEPT_S5_, .Lfunc_end20-_Z18warp_reduce_kernelI12hip_bfloat16Lj256ELj64EENSt9enable_ifIXntsr10test_utilsE35device_test_enabled_for_warp_size_vIXT1_EEEvE4typeEPT_S5_
                                        ; -- End function
	.section	.AMDGPU.csdata,"",@progbits
; Kernel info:
; codeLenInByte = 4
; NumSgprs: 0
; NumVgprs: 0
; ScratchSize: 0
; MemoryBound: 0
; FloatMode: 240
; IeeeMode: 1
; LDSByteSize: 0 bytes/workgroup (compile time only)
; SGPRBlocks: 0
; VGPRBlocks: 0
; NumSGPRsForWavesPerEU: 1
; NumVGPRsForWavesPerEU: 1
; Occupancy: 16
; WaveLimiterHint : 0
; COMPUTE_PGM_RSRC2:SCRATCH_EN: 0
; COMPUTE_PGM_RSRC2:USER_SGPR: 15
; COMPUTE_PGM_RSRC2:TRAP_HANDLER: 0
; COMPUTE_PGM_RSRC2:TGID_X_EN: 1
; COMPUTE_PGM_RSRC2:TGID_Y_EN: 0
; COMPUTE_PGM_RSRC2:TGID_Z_EN: 0
; COMPUTE_PGM_RSRC2:TIDIG_COMP_CNT: 0
	.section	.text._Z18warp_reduce_kernelI12hip_bfloat16Lj128ELj32EENSt9enable_ifIXsr10test_utilsE35device_test_enabled_for_warp_size_vIXT1_EEEvE4typeEPT_S5_,"axG",@progbits,_Z18warp_reduce_kernelI12hip_bfloat16Lj128ELj32EENSt9enable_ifIXsr10test_utilsE35device_test_enabled_for_warp_size_vIXT1_EEEvE4typeEPT_S5_,comdat
	.protected	_Z18warp_reduce_kernelI12hip_bfloat16Lj128ELj32EENSt9enable_ifIXsr10test_utilsE35device_test_enabled_for_warp_size_vIXT1_EEEvE4typeEPT_S5_ ; -- Begin function _Z18warp_reduce_kernelI12hip_bfloat16Lj128ELj32EENSt9enable_ifIXsr10test_utilsE35device_test_enabled_for_warp_size_vIXT1_EEEvE4typeEPT_S5_
	.globl	_Z18warp_reduce_kernelI12hip_bfloat16Lj128ELj32EENSt9enable_ifIXsr10test_utilsE35device_test_enabled_for_warp_size_vIXT1_EEEvE4typeEPT_S5_
	.p2align	8
	.type	_Z18warp_reduce_kernelI12hip_bfloat16Lj128ELj32EENSt9enable_ifIXsr10test_utilsE35device_test_enabled_for_warp_size_vIXT1_EEEvE4typeEPT_S5_,@function
_Z18warp_reduce_kernelI12hip_bfloat16Lj128ELj32EENSt9enable_ifIXsr10test_utilsE35device_test_enabled_for_warp_size_vIXT1_EEEvE4typeEPT_S5_: ; @_Z18warp_reduce_kernelI12hip_bfloat16Lj128ELj32EENSt9enable_ifIXsr10test_utilsE35device_test_enabled_for_warp_size_vIXT1_EEEvE4typeEPT_S5_
; %bb.0:
	s_clause 0x1
	s_load_b32 s4, s[0:1], 0x1c
	s_load_b128 s[0:3], s[0:1], 0x0
	s_waitcnt lgkmcnt(0)
	s_and_b32 s4, s4, 0xffff
	s_delay_alu instid0(SALU_CYCLE_1) | instskip(SKIP_1) | instid1(VALU_DEP_1)
	v_mad_u64_u32 v[1:2], null, s15, s4, v[0:1]
	v_mov_b32_e32 v2, 0
	v_lshlrev_b64 v[2:3], 1, v[1:2]
	s_delay_alu instid0(VALU_DEP_1) | instskip(NEXT) | instid1(VALU_DEP_2)
	v_add_co_u32 v2, vcc_lo, s0, v2
	v_add_co_ci_u32_e32 v3, vcc_lo, s1, v3, vcc_lo
	global_load_u16 v2, v[2:3], off
	s_waitcnt vmcnt(0)
	v_mov_b32_dpp v3, v2 quad_perm:[1,0,3,2] row_mask:0xf bank_mask:0xf
	v_lshlrev_b32_e32 v2, 16, v2
	s_delay_alu instid0(VALU_DEP_2) | instskip(NEXT) | instid1(VALU_DEP_1)
	v_lshlrev_b32_e32 v3, 16, v3
	v_add_f32_e32 v2, v2, v3
	s_delay_alu instid0(VALU_DEP_1) | instskip(NEXT) | instid1(VALU_DEP_1)
	v_and_b32_e32 v3, 0x7f800000, v2
	v_cmp_ne_u32_e32 vcc_lo, 0x7f800000, v3
                                        ; implicit-def: $vgpr3
	s_and_saveexec_b32 s0, vcc_lo
	s_delay_alu instid0(SALU_CYCLE_1)
	s_xor_b32 s0, exec_lo, s0
; %bb.1:
	v_bfe_u32 v3, v2, 16, 1
	s_delay_alu instid0(VALU_DEP_1)
	v_add3_u32 v3, v2, v3, 0x7fff
                                        ; implicit-def: $vgpr2
; %bb.2:
	s_and_not1_saveexec_b32 s0, s0
; %bb.3:
	v_and_b32_e32 v3, 0xffff, v2
	v_or_b32_e32 v4, 0x10000, v2
	s_delay_alu instid0(VALU_DEP_2) | instskip(NEXT) | instid1(VALU_DEP_2)
	v_cmp_eq_u32_e32 vcc_lo, 0, v3
	v_cndmask_b32_e32 v3, v4, v2, vcc_lo
; %bb.4:
	s_or_b32 exec_lo, exec_lo, s0
	s_delay_alu instid0(VALU_DEP_1) | instskip(SKIP_1) | instid1(VALU_DEP_2)
	v_lshrrev_b32_e32 v2, 16, v3
	v_and_b32_e32 v3, 0xffff0000, v3
	v_mov_b32_dpp v2, v2 quad_perm:[2,3,0,1] row_mask:0xf bank_mask:0xf
	s_delay_alu instid0(VALU_DEP_1) | instskip(NEXT) | instid1(VALU_DEP_1)
	v_lshlrev_b32_e32 v2, 16, v2
	v_add_f32_e32 v2, v3, v2
	s_delay_alu instid0(VALU_DEP_1) | instskip(NEXT) | instid1(VALU_DEP_1)
	v_and_b32_e32 v3, 0x7f800000, v2
	v_cmp_ne_u32_e32 vcc_lo, 0x7f800000, v3
                                        ; implicit-def: $vgpr3
	s_and_saveexec_b32 s0, vcc_lo
	s_delay_alu instid0(SALU_CYCLE_1)
	s_xor_b32 s0, exec_lo, s0
; %bb.5:
	v_bfe_u32 v3, v2, 16, 1
	s_delay_alu instid0(VALU_DEP_1)
	v_add3_u32 v3, v2, v3, 0x7fff
                                        ; implicit-def: $vgpr2
; %bb.6:
	s_and_not1_saveexec_b32 s0, s0
; %bb.7:
	v_and_b32_e32 v3, 0xffff, v2
	v_or_b32_e32 v4, 0x10000, v2
	s_delay_alu instid0(VALU_DEP_2) | instskip(NEXT) | instid1(VALU_DEP_2)
	v_cmp_eq_u32_e32 vcc_lo, 0, v3
	v_cndmask_b32_e32 v3, v4, v2, vcc_lo
; %bb.8:
	s_or_b32 exec_lo, exec_lo, s0
	s_delay_alu instid0(VALU_DEP_1) | instskip(SKIP_1) | instid1(VALU_DEP_2)
	v_lshrrev_b32_e32 v2, 16, v3
	v_and_b32_e32 v3, 0xffff0000, v3
	v_mov_b32_dpp v2, v2 row_ror:4 row_mask:0xf bank_mask:0xf
	s_delay_alu instid0(VALU_DEP_1) | instskip(NEXT) | instid1(VALU_DEP_1)
	v_lshlrev_b32_e32 v2, 16, v2
	v_add_f32_e32 v2, v3, v2
	s_delay_alu instid0(VALU_DEP_1) | instskip(NEXT) | instid1(VALU_DEP_1)
	v_and_b32_e32 v3, 0x7f800000, v2
	v_cmp_ne_u32_e32 vcc_lo, 0x7f800000, v3
                                        ; implicit-def: $vgpr3
	s_and_saveexec_b32 s0, vcc_lo
	s_delay_alu instid0(SALU_CYCLE_1)
	s_xor_b32 s0, exec_lo, s0
; %bb.9:
	v_bfe_u32 v3, v2, 16, 1
	s_delay_alu instid0(VALU_DEP_1)
	v_add3_u32 v3, v2, v3, 0x7fff
                                        ; implicit-def: $vgpr2
; %bb.10:
	s_and_not1_saveexec_b32 s0, s0
; %bb.11:
	v_and_b32_e32 v3, 0xffff, v2
	v_or_b32_e32 v4, 0x10000, v2
	s_delay_alu instid0(VALU_DEP_2) | instskip(NEXT) | instid1(VALU_DEP_2)
	v_cmp_eq_u32_e32 vcc_lo, 0, v3
	v_cndmask_b32_e32 v3, v4, v2, vcc_lo
; %bb.12:
	s_or_b32 exec_lo, exec_lo, s0
	s_delay_alu instid0(VALU_DEP_1) | instskip(SKIP_1) | instid1(VALU_DEP_2)
	v_lshrrev_b32_e32 v2, 16, v3
	v_and_b32_e32 v3, 0xffff0000, v3
	v_mov_b32_dpp v2, v2 row_ror:8 row_mask:0xf bank_mask:0xf
	s_delay_alu instid0(VALU_DEP_1) | instskip(NEXT) | instid1(VALU_DEP_1)
	v_lshlrev_b32_e32 v2, 16, v2
	v_add_f32_e32 v2, v3, v2
	s_delay_alu instid0(VALU_DEP_1) | instskip(NEXT) | instid1(VALU_DEP_1)
	v_and_b32_e32 v3, 0x7f800000, v2
	v_cmp_ne_u32_e32 vcc_lo, 0x7f800000, v3
                                        ; implicit-def: $vgpr3
	s_and_saveexec_b32 s0, vcc_lo
	s_delay_alu instid0(SALU_CYCLE_1)
	s_xor_b32 s0, exec_lo, s0
; %bb.13:
	v_bfe_u32 v3, v2, 16, 1
	s_delay_alu instid0(VALU_DEP_1)
	v_add3_u32 v3, v2, v3, 0x7fff
                                        ; implicit-def: $vgpr2
; %bb.14:
	s_and_not1_saveexec_b32 s0, s0
; %bb.15:
	v_and_b32_e32 v3, 0xffff, v2
	v_or_b32_e32 v4, 0x10000, v2
	s_delay_alu instid0(VALU_DEP_2) | instskip(NEXT) | instid1(VALU_DEP_2)
	v_cmp_eq_u32_e32 vcc_lo, 0, v3
	v_cndmask_b32_e32 v3, v4, v2, vcc_lo
; %bb.16:
	s_or_b32 exec_lo, exec_lo, s0
	s_delay_alu instid0(VALU_DEP_1) | instskip(SKIP_4) | instid1(VALU_DEP_1)
	v_lshrrev_b32_e32 v2, 16, v3
	v_and_b32_e32 v3, 0xffff0000, v3
	ds_swizzle_b32 v2, v2 offset:swizzle(BROADCAST,32,15)
	s_waitcnt lgkmcnt(0)
	v_lshlrev_b32_e32 v2, 16, v2
	v_add_f32_e32 v2, v3, v2
	s_delay_alu instid0(VALU_DEP_1) | instskip(NEXT) | instid1(VALU_DEP_1)
	v_and_b32_e32 v3, 0x7f800000, v2
	v_cmp_ne_u32_e32 vcc_lo, 0x7f800000, v3
                                        ; implicit-def: $vgpr3
	s_and_saveexec_b32 s0, vcc_lo
	s_delay_alu instid0(SALU_CYCLE_1)
	s_xor_b32 s0, exec_lo, s0
; %bb.17:
	v_bfe_u32 v3, v2, 16, 1
	s_delay_alu instid0(VALU_DEP_1)
	v_add3_u32 v3, v2, v3, 0x7fff
                                        ; implicit-def: $vgpr2
; %bb.18:
	s_and_not1_saveexec_b32 s0, s0
; %bb.19:
	v_and_b32_e32 v3, 0xffff, v2
	v_or_b32_e32 v4, 0x10000, v2
	s_delay_alu instid0(VALU_DEP_2) | instskip(NEXT) | instid1(VALU_DEP_2)
	v_cmp_eq_u32_e32 vcc_lo, 0, v3
	v_cndmask_b32_e32 v3, v4, v2, vcc_lo
; %bb.20:
	s_or_b32 exec_lo, exec_lo, s0
	s_delay_alu instid0(VALU_DEP_1)
	v_lshrrev_b32_e32 v2, 16, v3
	v_dual_mov_b32 v3, 0 :: v_dual_and_b32 v0, 31, v0
	s_mov_b32 s0, exec_lo
	ds_bpermute_b32 v2, v3, v2 offset:124
	v_cmpx_eq_u32_e32 0, v0
	s_cbranch_execz .LBB21_22
; %bb.21:
	v_lshrrev_b32_e32 v0, 4, v1
	s_delay_alu instid0(VALU_DEP_1)
	v_and_b32_e32 v0, 0xffffffe, v0
	s_waitcnt lgkmcnt(0)
	global_store_b16 v0, v2, s[2:3]
.LBB21_22:
	s_nop 0
	s_sendmsg sendmsg(MSG_DEALLOC_VGPRS)
	s_endpgm
	.section	.rodata,"a",@progbits
	.p2align	6, 0x0
	.amdhsa_kernel _Z18warp_reduce_kernelI12hip_bfloat16Lj128ELj32EENSt9enable_ifIXsr10test_utilsE35device_test_enabled_for_warp_size_vIXT1_EEEvE4typeEPT_S5_
		.amdhsa_group_segment_fixed_size 0
		.amdhsa_private_segment_fixed_size 0
		.amdhsa_kernarg_size 272
		.amdhsa_user_sgpr_count 15
		.amdhsa_user_sgpr_dispatch_ptr 0
		.amdhsa_user_sgpr_queue_ptr 0
		.amdhsa_user_sgpr_kernarg_segment_ptr 1
		.amdhsa_user_sgpr_dispatch_id 0
		.amdhsa_user_sgpr_private_segment_size 0
		.amdhsa_wavefront_size32 1
		.amdhsa_uses_dynamic_stack 0
		.amdhsa_enable_private_segment 0
		.amdhsa_system_sgpr_workgroup_id_x 1
		.amdhsa_system_sgpr_workgroup_id_y 0
		.amdhsa_system_sgpr_workgroup_id_z 0
		.amdhsa_system_sgpr_workgroup_info 0
		.amdhsa_system_vgpr_workitem_id 0
		.amdhsa_next_free_vgpr 5
		.amdhsa_next_free_sgpr 16
		.amdhsa_reserve_vcc 1
		.amdhsa_float_round_mode_32 0
		.amdhsa_float_round_mode_16_64 0
		.amdhsa_float_denorm_mode_32 3
		.amdhsa_float_denorm_mode_16_64 3
		.amdhsa_dx10_clamp 1
		.amdhsa_ieee_mode 1
		.amdhsa_fp16_overflow 0
		.amdhsa_workgroup_processor_mode 1
		.amdhsa_memory_ordered 1
		.amdhsa_forward_progress 0
		.amdhsa_shared_vgpr_count 0
		.amdhsa_exception_fp_ieee_invalid_op 0
		.amdhsa_exception_fp_denorm_src 0
		.amdhsa_exception_fp_ieee_div_zero 0
		.amdhsa_exception_fp_ieee_overflow 0
		.amdhsa_exception_fp_ieee_underflow 0
		.amdhsa_exception_fp_ieee_inexact 0
		.amdhsa_exception_int_div_zero 0
	.end_amdhsa_kernel
	.section	.text._Z18warp_reduce_kernelI12hip_bfloat16Lj128ELj32EENSt9enable_ifIXsr10test_utilsE35device_test_enabled_for_warp_size_vIXT1_EEEvE4typeEPT_S5_,"axG",@progbits,_Z18warp_reduce_kernelI12hip_bfloat16Lj128ELj32EENSt9enable_ifIXsr10test_utilsE35device_test_enabled_for_warp_size_vIXT1_EEEvE4typeEPT_S5_,comdat
.Lfunc_end21:
	.size	_Z18warp_reduce_kernelI12hip_bfloat16Lj128ELj32EENSt9enable_ifIXsr10test_utilsE35device_test_enabled_for_warp_size_vIXT1_EEEvE4typeEPT_S5_, .Lfunc_end21-_Z18warp_reduce_kernelI12hip_bfloat16Lj128ELj32EENSt9enable_ifIXsr10test_utilsE35device_test_enabled_for_warp_size_vIXT1_EEEvE4typeEPT_S5_
                                        ; -- End function
	.section	.AMDGPU.csdata,"",@progbits
; Kernel info:
; codeLenInByte = 788
; NumSgprs: 18
; NumVgprs: 5
; ScratchSize: 0
; MemoryBound: 0
; FloatMode: 240
; IeeeMode: 1
; LDSByteSize: 0 bytes/workgroup (compile time only)
; SGPRBlocks: 2
; VGPRBlocks: 0
; NumSGPRsForWavesPerEU: 18
; NumVGPRsForWavesPerEU: 5
; Occupancy: 16
; WaveLimiterHint : 0
; COMPUTE_PGM_RSRC2:SCRATCH_EN: 0
; COMPUTE_PGM_RSRC2:USER_SGPR: 15
; COMPUTE_PGM_RSRC2:TRAP_HANDLER: 0
; COMPUTE_PGM_RSRC2:TGID_X_EN: 1
; COMPUTE_PGM_RSRC2:TGID_Y_EN: 0
; COMPUTE_PGM_RSRC2:TGID_Z_EN: 0
; COMPUTE_PGM_RSRC2:TIDIG_COMP_CNT: 0
	.section	.text._Z18warp_reduce_kernelI12hip_bfloat16Lj64ELj16EENSt9enable_ifIXsr10test_utilsE35device_test_enabled_for_warp_size_vIXT1_EEEvE4typeEPT_S5_,"axG",@progbits,_Z18warp_reduce_kernelI12hip_bfloat16Lj64ELj16EENSt9enable_ifIXsr10test_utilsE35device_test_enabled_for_warp_size_vIXT1_EEEvE4typeEPT_S5_,comdat
	.protected	_Z18warp_reduce_kernelI12hip_bfloat16Lj64ELj16EENSt9enable_ifIXsr10test_utilsE35device_test_enabled_for_warp_size_vIXT1_EEEvE4typeEPT_S5_ ; -- Begin function _Z18warp_reduce_kernelI12hip_bfloat16Lj64ELj16EENSt9enable_ifIXsr10test_utilsE35device_test_enabled_for_warp_size_vIXT1_EEEvE4typeEPT_S5_
	.globl	_Z18warp_reduce_kernelI12hip_bfloat16Lj64ELj16EENSt9enable_ifIXsr10test_utilsE35device_test_enabled_for_warp_size_vIXT1_EEEvE4typeEPT_S5_
	.p2align	8
	.type	_Z18warp_reduce_kernelI12hip_bfloat16Lj64ELj16EENSt9enable_ifIXsr10test_utilsE35device_test_enabled_for_warp_size_vIXT1_EEEvE4typeEPT_S5_,@function
_Z18warp_reduce_kernelI12hip_bfloat16Lj64ELj16EENSt9enable_ifIXsr10test_utilsE35device_test_enabled_for_warp_size_vIXT1_EEEvE4typeEPT_S5_: ; @_Z18warp_reduce_kernelI12hip_bfloat16Lj64ELj16EENSt9enable_ifIXsr10test_utilsE35device_test_enabled_for_warp_size_vIXT1_EEEvE4typeEPT_S5_
; %bb.0:
	s_clause 0x1
	s_load_b32 s4, s[0:1], 0x1c
	s_load_b128 s[0:3], s[0:1], 0x0
	s_waitcnt lgkmcnt(0)
	s_and_b32 s4, s4, 0xffff
	s_delay_alu instid0(SALU_CYCLE_1) | instskip(SKIP_1) | instid1(VALU_DEP_1)
	v_mad_u64_u32 v[1:2], null, s15, s4, v[0:1]
	v_mov_b32_e32 v2, 0
	v_lshlrev_b64 v[2:3], 1, v[1:2]
	s_delay_alu instid0(VALU_DEP_1) | instskip(NEXT) | instid1(VALU_DEP_2)
	v_add_co_u32 v2, vcc_lo, s0, v2
	v_add_co_ci_u32_e32 v3, vcc_lo, s1, v3, vcc_lo
	global_load_u16 v4, v[2:3], off
	v_mbcnt_lo_u32_b32 v2, -1, 0
	s_delay_alu instid0(VALU_DEP_1) | instskip(NEXT) | instid1(VALU_DEP_1)
	v_and_b32_e32 v3, 15, v2
	v_cmp_ne_u32_e32 vcc_lo, 15, v3
	v_add_co_ci_u32_e32 v5, vcc_lo, 0, v2, vcc_lo
	s_delay_alu instid0(VALU_DEP_1)
	v_lshlrev_b32_e32 v5, 2, v5
	s_waitcnt vmcnt(0)
	ds_bpermute_b32 v5, v5, v4
	v_lshlrev_b32_e32 v4, 16, v4
	s_waitcnt lgkmcnt(0)
	v_lshlrev_b32_e32 v5, 16, v5
	s_delay_alu instid0(VALU_DEP_1) | instskip(NEXT) | instid1(VALU_DEP_1)
	v_add_f32_e32 v5, v4, v5
	v_and_b32_e32 v4, 0x7f800000, v5
	s_delay_alu instid0(VALU_DEP_1) | instskip(SKIP_1) | instid1(SALU_CYCLE_1)
	v_cmp_ne_u32_e32 vcc_lo, 0x7f800000, v4
                                        ; implicit-def: $vgpr4
	s_and_saveexec_b32 s0, vcc_lo
	s_xor_b32 s0, exec_lo, s0
; %bb.1:
	v_bfe_u32 v4, v5, 16, 1
	s_delay_alu instid0(VALU_DEP_1)
	v_add3_u32 v4, v5, v4, 0x7fff
                                        ; implicit-def: $vgpr5
; %bb.2:
	s_and_not1_saveexec_b32 s0, s0
; %bb.3:
	v_and_b32_e32 v4, 0xffff, v5
	v_or_b32_e32 v6, 0x10000, v5
	s_delay_alu instid0(VALU_DEP_2) | instskip(NEXT) | instid1(VALU_DEP_2)
	v_cmp_eq_u32_e32 vcc_lo, 0, v4
	v_cndmask_b32_e32 v4, v6, v5, vcc_lo
; %bb.4:
	s_or_b32 exec_lo, exec_lo, s0
	v_cmp_gt_u32_e32 vcc_lo, 14, v3
	s_delay_alu instid0(VALU_DEP_2) | instskip(SKIP_2) | instid1(VALU_DEP_1)
	v_lshrrev_b32_e32 v6, 16, v4
	v_and_b32_e32 v4, 0xffff0000, v4
	v_cndmask_b32_e64 v5, 0, 1, vcc_lo
	v_lshlrev_b32_e32 v5, 1, v5
	s_delay_alu instid0(VALU_DEP_1) | instskip(SKIP_3) | instid1(VALU_DEP_1)
	v_add_lshl_u32 v5, v5, v2, 2
	ds_bpermute_b32 v5, v5, v6
	s_waitcnt lgkmcnt(0)
	v_lshlrev_b32_e32 v5, 16, v5
	v_add_f32_e32 v5, v4, v5
	s_delay_alu instid0(VALU_DEP_1) | instskip(NEXT) | instid1(VALU_DEP_1)
	v_and_b32_e32 v4, 0x7f800000, v5
	v_cmp_ne_u32_e32 vcc_lo, 0x7f800000, v4
                                        ; implicit-def: $vgpr4
	s_and_saveexec_b32 s0, vcc_lo
	s_delay_alu instid0(SALU_CYCLE_1)
	s_xor_b32 s0, exec_lo, s0
; %bb.5:
	v_bfe_u32 v4, v5, 16, 1
	s_delay_alu instid0(VALU_DEP_1)
	v_add3_u32 v4, v5, v4, 0x7fff
                                        ; implicit-def: $vgpr5
; %bb.6:
	s_and_not1_saveexec_b32 s0, s0
; %bb.7:
	v_and_b32_e32 v4, 0xffff, v5
	v_or_b32_e32 v6, 0x10000, v5
	s_delay_alu instid0(VALU_DEP_2) | instskip(NEXT) | instid1(VALU_DEP_2)
	v_cmp_eq_u32_e32 vcc_lo, 0, v4
	v_cndmask_b32_e32 v4, v6, v5, vcc_lo
; %bb.8:
	s_or_b32 exec_lo, exec_lo, s0
	v_cmp_gt_u32_e32 vcc_lo, 12, v3
	s_delay_alu instid0(VALU_DEP_2) | instskip(SKIP_2) | instid1(VALU_DEP_1)
	v_lshrrev_b32_e32 v6, 16, v4
	v_and_b32_e32 v4, 0xffff0000, v4
	v_cndmask_b32_e64 v5, 0, 1, vcc_lo
	v_lshlrev_b32_e32 v5, 2, v5
	s_delay_alu instid0(VALU_DEP_1) | instskip(SKIP_3) | instid1(VALU_DEP_1)
	v_add_lshl_u32 v5, v5, v2, 2
	ds_bpermute_b32 v5, v5, v6
	s_waitcnt lgkmcnt(0)
	v_lshlrev_b32_e32 v5, 16, v5
	v_add_f32_e32 v5, v4, v5
	s_delay_alu instid0(VALU_DEP_1) | instskip(NEXT) | instid1(VALU_DEP_1)
	v_and_b32_e32 v4, 0x7f800000, v5
	v_cmp_ne_u32_e32 vcc_lo, 0x7f800000, v4
                                        ; implicit-def: $vgpr4
	s_and_saveexec_b32 s0, vcc_lo
	s_delay_alu instid0(SALU_CYCLE_1)
	s_xor_b32 s0, exec_lo, s0
; %bb.9:
	v_bfe_u32 v4, v5, 16, 1
	s_delay_alu instid0(VALU_DEP_1)
	v_add3_u32 v4, v5, v4, 0x7fff
                                        ; implicit-def: $vgpr5
; %bb.10:
	s_and_not1_saveexec_b32 s0, s0
; %bb.11:
	v_and_b32_e32 v4, 0xffff, v5
	v_or_b32_e32 v6, 0x10000, v5
	s_delay_alu instid0(VALU_DEP_2) | instskip(NEXT) | instid1(VALU_DEP_2)
	v_cmp_eq_u32_e32 vcc_lo, 0, v4
	v_cndmask_b32_e32 v4, v6, v5, vcc_lo
; %bb.12:
	s_or_b32 exec_lo, exec_lo, s0
	v_cmp_gt_u32_e32 vcc_lo, 8, v3
	s_delay_alu instid0(VALU_DEP_2) | instskip(SKIP_1) | instid1(VALU_DEP_1)
	v_lshrrev_b32_e32 v5, 16, v4
	v_cndmask_b32_e64 v3, 0, 1, vcc_lo
	v_lshlrev_b32_e32 v3, 3, v3
	s_delay_alu instid0(VALU_DEP_1) | instskip(SKIP_4) | instid1(VALU_DEP_1)
	v_add_lshl_u32 v2, v3, v2, 2
	v_and_b32_e32 v3, 0xffff0000, v4
	ds_bpermute_b32 v2, v2, v5
	s_waitcnt lgkmcnt(0)
	v_lshlrev_b32_e32 v2, 16, v2
	v_add_f32_e32 v3, v3, v2
	s_delay_alu instid0(VALU_DEP_1) | instskip(NEXT) | instid1(VALU_DEP_1)
	v_and_b32_e32 v2, 0x7f800000, v3
	v_cmp_ne_u32_e32 vcc_lo, 0x7f800000, v2
                                        ; implicit-def: $vgpr2
	s_and_saveexec_b32 s0, vcc_lo
	s_delay_alu instid0(SALU_CYCLE_1)
	s_xor_b32 s0, exec_lo, s0
; %bb.13:
	v_bfe_u32 v2, v3, 16, 1
	s_delay_alu instid0(VALU_DEP_1)
	v_add3_u32 v2, v3, v2, 0x7fff
                                        ; implicit-def: $vgpr3
; %bb.14:
	s_and_not1_saveexec_b32 s0, s0
; %bb.15:
	v_and_b32_e32 v2, 0xffff, v3
	v_or_b32_e32 v4, 0x10000, v3
	s_delay_alu instid0(VALU_DEP_2) | instskip(NEXT) | instid1(VALU_DEP_2)
	v_cmp_eq_u32_e32 vcc_lo, 0, v2
	v_cndmask_b32_e32 v2, v4, v3, vcc_lo
; %bb.16:
	s_or_b32 exec_lo, exec_lo, s0
	v_and_b32_e32 v0, 15, v0
	s_mov_b32 s0, exec_lo
	s_delay_alu instid0(VALU_DEP_1)
	v_cmpx_eq_u32_e32 0, v0
	s_cbranch_execz .LBB22_18
; %bb.17:
	v_lshrrev_b32_e32 v0, 3, v1
	s_delay_alu instid0(VALU_DEP_1)
	v_and_b32_e32 v0, 0x1ffffffe, v0
	global_store_d16_hi_b16 v0, v2, s[2:3]
.LBB22_18:
	s_nop 0
	s_sendmsg sendmsg(MSG_DEALLOC_VGPRS)
	s_endpgm
	.section	.rodata,"a",@progbits
	.p2align	6, 0x0
	.amdhsa_kernel _Z18warp_reduce_kernelI12hip_bfloat16Lj64ELj16EENSt9enable_ifIXsr10test_utilsE35device_test_enabled_for_warp_size_vIXT1_EEEvE4typeEPT_S5_
		.amdhsa_group_segment_fixed_size 0
		.amdhsa_private_segment_fixed_size 0
		.amdhsa_kernarg_size 272
		.amdhsa_user_sgpr_count 15
		.amdhsa_user_sgpr_dispatch_ptr 0
		.amdhsa_user_sgpr_queue_ptr 0
		.amdhsa_user_sgpr_kernarg_segment_ptr 1
		.amdhsa_user_sgpr_dispatch_id 0
		.amdhsa_user_sgpr_private_segment_size 0
		.amdhsa_wavefront_size32 1
		.amdhsa_uses_dynamic_stack 0
		.amdhsa_enable_private_segment 0
		.amdhsa_system_sgpr_workgroup_id_x 1
		.amdhsa_system_sgpr_workgroup_id_y 0
		.amdhsa_system_sgpr_workgroup_id_z 0
		.amdhsa_system_sgpr_workgroup_info 0
		.amdhsa_system_vgpr_workitem_id 0
		.amdhsa_next_free_vgpr 7
		.amdhsa_next_free_sgpr 16
		.amdhsa_reserve_vcc 1
		.amdhsa_float_round_mode_32 0
		.amdhsa_float_round_mode_16_64 0
		.amdhsa_float_denorm_mode_32 3
		.amdhsa_float_denorm_mode_16_64 3
		.amdhsa_dx10_clamp 1
		.amdhsa_ieee_mode 1
		.amdhsa_fp16_overflow 0
		.amdhsa_workgroup_processor_mode 1
		.amdhsa_memory_ordered 1
		.amdhsa_forward_progress 0
		.amdhsa_shared_vgpr_count 0
		.amdhsa_exception_fp_ieee_invalid_op 0
		.amdhsa_exception_fp_denorm_src 0
		.amdhsa_exception_fp_ieee_div_zero 0
		.amdhsa_exception_fp_ieee_overflow 0
		.amdhsa_exception_fp_ieee_underflow 0
		.amdhsa_exception_fp_ieee_inexact 0
		.amdhsa_exception_int_div_zero 0
	.end_amdhsa_kernel
	.section	.text._Z18warp_reduce_kernelI12hip_bfloat16Lj64ELj16EENSt9enable_ifIXsr10test_utilsE35device_test_enabled_for_warp_size_vIXT1_EEEvE4typeEPT_S5_,"axG",@progbits,_Z18warp_reduce_kernelI12hip_bfloat16Lj64ELj16EENSt9enable_ifIXsr10test_utilsE35device_test_enabled_for_warp_size_vIXT1_EEEvE4typeEPT_S5_,comdat
.Lfunc_end22:
	.size	_Z18warp_reduce_kernelI12hip_bfloat16Lj64ELj16EENSt9enable_ifIXsr10test_utilsE35device_test_enabled_for_warp_size_vIXT1_EEEvE4typeEPT_S5_, .Lfunc_end22-_Z18warp_reduce_kernelI12hip_bfloat16Lj64ELj16EENSt9enable_ifIXsr10test_utilsE35device_test_enabled_for_warp_size_vIXT1_EEEvE4typeEPT_S5_
                                        ; -- End function
	.section	.AMDGPU.csdata,"",@progbits
; Kernel info:
; codeLenInByte = 756
; NumSgprs: 18
; NumVgprs: 7
; ScratchSize: 0
; MemoryBound: 0
; FloatMode: 240
; IeeeMode: 1
; LDSByteSize: 0 bytes/workgroup (compile time only)
; SGPRBlocks: 2
; VGPRBlocks: 0
; NumSGPRsForWavesPerEU: 18
; NumVGPRsForWavesPerEU: 7
; Occupancy: 16
; WaveLimiterHint : 0
; COMPUTE_PGM_RSRC2:SCRATCH_EN: 0
; COMPUTE_PGM_RSRC2:USER_SGPR: 15
; COMPUTE_PGM_RSRC2:TRAP_HANDLER: 0
; COMPUTE_PGM_RSRC2:TGID_X_EN: 1
; COMPUTE_PGM_RSRC2:TGID_Y_EN: 0
; COMPUTE_PGM_RSRC2:TGID_Z_EN: 0
; COMPUTE_PGM_RSRC2:TIDIG_COMP_CNT: 0
	.section	.text._Z18warp_reduce_kernelI12hip_bfloat16Lj32ELj8EENSt9enable_ifIXsr10test_utilsE35device_test_enabled_for_warp_size_vIXT1_EEEvE4typeEPT_S5_,"axG",@progbits,_Z18warp_reduce_kernelI12hip_bfloat16Lj32ELj8EENSt9enable_ifIXsr10test_utilsE35device_test_enabled_for_warp_size_vIXT1_EEEvE4typeEPT_S5_,comdat
	.protected	_Z18warp_reduce_kernelI12hip_bfloat16Lj32ELj8EENSt9enable_ifIXsr10test_utilsE35device_test_enabled_for_warp_size_vIXT1_EEEvE4typeEPT_S5_ ; -- Begin function _Z18warp_reduce_kernelI12hip_bfloat16Lj32ELj8EENSt9enable_ifIXsr10test_utilsE35device_test_enabled_for_warp_size_vIXT1_EEEvE4typeEPT_S5_
	.globl	_Z18warp_reduce_kernelI12hip_bfloat16Lj32ELj8EENSt9enable_ifIXsr10test_utilsE35device_test_enabled_for_warp_size_vIXT1_EEEvE4typeEPT_S5_
	.p2align	8
	.type	_Z18warp_reduce_kernelI12hip_bfloat16Lj32ELj8EENSt9enable_ifIXsr10test_utilsE35device_test_enabled_for_warp_size_vIXT1_EEEvE4typeEPT_S5_,@function
_Z18warp_reduce_kernelI12hip_bfloat16Lj32ELj8EENSt9enable_ifIXsr10test_utilsE35device_test_enabled_for_warp_size_vIXT1_EEEvE4typeEPT_S5_: ; @_Z18warp_reduce_kernelI12hip_bfloat16Lj32ELj8EENSt9enable_ifIXsr10test_utilsE35device_test_enabled_for_warp_size_vIXT1_EEEvE4typeEPT_S5_
; %bb.0:
	s_clause 0x1
	s_load_b32 s4, s[0:1], 0x1c
	s_load_b128 s[0:3], s[0:1], 0x0
	s_waitcnt lgkmcnt(0)
	s_and_b32 s4, s4, 0xffff
	s_delay_alu instid0(SALU_CYCLE_1) | instskip(SKIP_1) | instid1(VALU_DEP_1)
	v_mad_u64_u32 v[1:2], null, s15, s4, v[0:1]
	v_mov_b32_e32 v2, 0
	v_lshlrev_b64 v[2:3], 1, v[1:2]
	s_delay_alu instid0(VALU_DEP_1) | instskip(NEXT) | instid1(VALU_DEP_2)
	v_add_co_u32 v2, vcc_lo, s0, v2
	v_add_co_ci_u32_e32 v3, vcc_lo, s1, v3, vcc_lo
	global_load_u16 v4, v[2:3], off
	v_mbcnt_lo_u32_b32 v2, -1, 0
	s_delay_alu instid0(VALU_DEP_1) | instskip(NEXT) | instid1(VALU_DEP_1)
	v_and_b32_e32 v3, 7, v2
	v_cmp_ne_u32_e32 vcc_lo, 7, v3
	v_add_co_ci_u32_e32 v5, vcc_lo, 0, v2, vcc_lo
	s_delay_alu instid0(VALU_DEP_1)
	v_lshlrev_b32_e32 v5, 2, v5
	s_waitcnt vmcnt(0)
	ds_bpermute_b32 v5, v5, v4
	v_lshlrev_b32_e32 v4, 16, v4
	s_waitcnt lgkmcnt(0)
	v_lshlrev_b32_e32 v5, 16, v5
	s_delay_alu instid0(VALU_DEP_1) | instskip(NEXT) | instid1(VALU_DEP_1)
	v_add_f32_e32 v5, v4, v5
	v_and_b32_e32 v4, 0x7f800000, v5
	s_delay_alu instid0(VALU_DEP_1) | instskip(SKIP_1) | instid1(SALU_CYCLE_1)
	v_cmp_ne_u32_e32 vcc_lo, 0x7f800000, v4
                                        ; implicit-def: $vgpr4
	s_and_saveexec_b32 s0, vcc_lo
	s_xor_b32 s0, exec_lo, s0
; %bb.1:
	v_bfe_u32 v4, v5, 16, 1
	s_delay_alu instid0(VALU_DEP_1)
	v_add3_u32 v4, v5, v4, 0x7fff
                                        ; implicit-def: $vgpr5
; %bb.2:
	s_and_not1_saveexec_b32 s0, s0
; %bb.3:
	v_and_b32_e32 v4, 0xffff, v5
	v_or_b32_e32 v6, 0x10000, v5
	s_delay_alu instid0(VALU_DEP_2) | instskip(NEXT) | instid1(VALU_DEP_2)
	v_cmp_eq_u32_e32 vcc_lo, 0, v4
	v_cndmask_b32_e32 v4, v6, v5, vcc_lo
; %bb.4:
	s_or_b32 exec_lo, exec_lo, s0
	v_cmp_gt_u32_e32 vcc_lo, 6, v3
	s_delay_alu instid0(VALU_DEP_2) | instskip(SKIP_2) | instid1(VALU_DEP_1)
	v_lshrrev_b32_e32 v6, 16, v4
	v_and_b32_e32 v4, 0xffff0000, v4
	v_cndmask_b32_e64 v5, 0, 1, vcc_lo
	v_lshlrev_b32_e32 v5, 1, v5
	s_delay_alu instid0(VALU_DEP_1) | instskip(SKIP_3) | instid1(VALU_DEP_1)
	v_add_lshl_u32 v5, v5, v2, 2
	ds_bpermute_b32 v5, v5, v6
	s_waitcnt lgkmcnt(0)
	v_lshlrev_b32_e32 v5, 16, v5
	v_add_f32_e32 v5, v4, v5
	s_delay_alu instid0(VALU_DEP_1) | instskip(NEXT) | instid1(VALU_DEP_1)
	v_and_b32_e32 v4, 0x7f800000, v5
	v_cmp_ne_u32_e32 vcc_lo, 0x7f800000, v4
                                        ; implicit-def: $vgpr4
	s_and_saveexec_b32 s0, vcc_lo
	s_delay_alu instid0(SALU_CYCLE_1)
	s_xor_b32 s0, exec_lo, s0
; %bb.5:
	v_bfe_u32 v4, v5, 16, 1
	s_delay_alu instid0(VALU_DEP_1)
	v_add3_u32 v4, v5, v4, 0x7fff
                                        ; implicit-def: $vgpr5
; %bb.6:
	s_and_not1_saveexec_b32 s0, s0
; %bb.7:
	v_and_b32_e32 v4, 0xffff, v5
	v_or_b32_e32 v6, 0x10000, v5
	s_delay_alu instid0(VALU_DEP_2) | instskip(NEXT) | instid1(VALU_DEP_2)
	v_cmp_eq_u32_e32 vcc_lo, 0, v4
	v_cndmask_b32_e32 v4, v6, v5, vcc_lo
; %bb.8:
	s_or_b32 exec_lo, exec_lo, s0
	v_cmp_gt_u32_e32 vcc_lo, 4, v3
	s_delay_alu instid0(VALU_DEP_2) | instskip(SKIP_1) | instid1(VALU_DEP_1)
	v_lshrrev_b32_e32 v5, 16, v4
	v_cndmask_b32_e64 v3, 0, 1, vcc_lo
	v_lshlrev_b32_e32 v3, 2, v3
	s_delay_alu instid0(VALU_DEP_1) | instskip(SKIP_4) | instid1(VALU_DEP_1)
	v_add_lshl_u32 v2, v3, v2, 2
	v_and_b32_e32 v3, 0xffff0000, v4
	ds_bpermute_b32 v2, v2, v5
	s_waitcnt lgkmcnt(0)
	v_lshlrev_b32_e32 v2, 16, v2
	v_add_f32_e32 v3, v3, v2
	s_delay_alu instid0(VALU_DEP_1) | instskip(NEXT) | instid1(VALU_DEP_1)
	v_and_b32_e32 v2, 0x7f800000, v3
	v_cmp_ne_u32_e32 vcc_lo, 0x7f800000, v2
                                        ; implicit-def: $vgpr2
	s_and_saveexec_b32 s0, vcc_lo
	s_delay_alu instid0(SALU_CYCLE_1)
	s_xor_b32 s0, exec_lo, s0
; %bb.9:
	v_bfe_u32 v2, v3, 16, 1
	s_delay_alu instid0(VALU_DEP_1)
	v_add3_u32 v2, v3, v2, 0x7fff
                                        ; implicit-def: $vgpr3
; %bb.10:
	s_and_not1_saveexec_b32 s0, s0
; %bb.11:
	v_and_b32_e32 v2, 0xffff, v3
	v_or_b32_e32 v4, 0x10000, v3
	s_delay_alu instid0(VALU_DEP_2) | instskip(NEXT) | instid1(VALU_DEP_2)
	v_cmp_eq_u32_e32 vcc_lo, 0, v2
	v_cndmask_b32_e32 v2, v4, v3, vcc_lo
; %bb.12:
	s_or_b32 exec_lo, exec_lo, s0
	v_and_b32_e32 v0, 7, v0
	s_mov_b32 s0, exec_lo
	s_delay_alu instid0(VALU_DEP_1)
	v_cmpx_eq_u32_e32 0, v0
	s_cbranch_execz .LBB23_14
; %bb.13:
	v_lshrrev_b32_e32 v0, 2, v1
	s_delay_alu instid0(VALU_DEP_1)
	v_and_b32_e32 v0, 0x3ffffffe, v0
	global_store_d16_hi_b16 v0, v2, s[2:3]
.LBB23_14:
	s_nop 0
	s_sendmsg sendmsg(MSG_DEALLOC_VGPRS)
	s_endpgm
	.section	.rodata,"a",@progbits
	.p2align	6, 0x0
	.amdhsa_kernel _Z18warp_reduce_kernelI12hip_bfloat16Lj32ELj8EENSt9enable_ifIXsr10test_utilsE35device_test_enabled_for_warp_size_vIXT1_EEEvE4typeEPT_S5_
		.amdhsa_group_segment_fixed_size 0
		.amdhsa_private_segment_fixed_size 0
		.amdhsa_kernarg_size 272
		.amdhsa_user_sgpr_count 15
		.amdhsa_user_sgpr_dispatch_ptr 0
		.amdhsa_user_sgpr_queue_ptr 0
		.amdhsa_user_sgpr_kernarg_segment_ptr 1
		.amdhsa_user_sgpr_dispatch_id 0
		.amdhsa_user_sgpr_private_segment_size 0
		.amdhsa_wavefront_size32 1
		.amdhsa_uses_dynamic_stack 0
		.amdhsa_enable_private_segment 0
		.amdhsa_system_sgpr_workgroup_id_x 1
		.amdhsa_system_sgpr_workgroup_id_y 0
		.amdhsa_system_sgpr_workgroup_id_z 0
		.amdhsa_system_sgpr_workgroup_info 0
		.amdhsa_system_vgpr_workitem_id 0
		.amdhsa_next_free_vgpr 7
		.amdhsa_next_free_sgpr 16
		.amdhsa_reserve_vcc 1
		.amdhsa_float_round_mode_32 0
		.amdhsa_float_round_mode_16_64 0
		.amdhsa_float_denorm_mode_32 3
		.amdhsa_float_denorm_mode_16_64 3
		.amdhsa_dx10_clamp 1
		.amdhsa_ieee_mode 1
		.amdhsa_fp16_overflow 0
		.amdhsa_workgroup_processor_mode 1
		.amdhsa_memory_ordered 1
		.amdhsa_forward_progress 0
		.amdhsa_shared_vgpr_count 0
		.amdhsa_exception_fp_ieee_invalid_op 0
		.amdhsa_exception_fp_denorm_src 0
		.amdhsa_exception_fp_ieee_div_zero 0
		.amdhsa_exception_fp_ieee_overflow 0
		.amdhsa_exception_fp_ieee_underflow 0
		.amdhsa_exception_fp_ieee_inexact 0
		.amdhsa_exception_int_div_zero 0
	.end_amdhsa_kernel
	.section	.text._Z18warp_reduce_kernelI12hip_bfloat16Lj32ELj8EENSt9enable_ifIXsr10test_utilsE35device_test_enabled_for_warp_size_vIXT1_EEEvE4typeEPT_S5_,"axG",@progbits,_Z18warp_reduce_kernelI12hip_bfloat16Lj32ELj8EENSt9enable_ifIXsr10test_utilsE35device_test_enabled_for_warp_size_vIXT1_EEEvE4typeEPT_S5_,comdat
.Lfunc_end23:
	.size	_Z18warp_reduce_kernelI12hip_bfloat16Lj32ELj8EENSt9enable_ifIXsr10test_utilsE35device_test_enabled_for_warp_size_vIXT1_EEEvE4typeEPT_S5_, .Lfunc_end23-_Z18warp_reduce_kernelI12hip_bfloat16Lj32ELj8EENSt9enable_ifIXsr10test_utilsE35device_test_enabled_for_warp_size_vIXT1_EEEvE4typeEPT_S5_
                                        ; -- End function
	.section	.AMDGPU.csdata,"",@progbits
; Kernel info:
; codeLenInByte = 600
; NumSgprs: 18
; NumVgprs: 7
; ScratchSize: 0
; MemoryBound: 0
; FloatMode: 240
; IeeeMode: 1
; LDSByteSize: 0 bytes/workgroup (compile time only)
; SGPRBlocks: 2
; VGPRBlocks: 0
; NumSGPRsForWavesPerEU: 18
; NumVGPRsForWavesPerEU: 7
; Occupancy: 16
; WaveLimiterHint : 0
; COMPUTE_PGM_RSRC2:SCRATCH_EN: 0
; COMPUTE_PGM_RSRC2:USER_SGPR: 15
; COMPUTE_PGM_RSRC2:TRAP_HANDLER: 0
; COMPUTE_PGM_RSRC2:TGID_X_EN: 1
; COMPUTE_PGM_RSRC2:TGID_Y_EN: 0
; COMPUTE_PGM_RSRC2:TGID_Z_EN: 0
; COMPUTE_PGM_RSRC2:TIDIG_COMP_CNT: 0
	.section	.text._Z18warp_reduce_kernelI12hip_bfloat16Lj64ELj8EENSt9enable_ifIXsr10test_utilsE35device_test_enabled_for_warp_size_vIXT1_EEEvE4typeEPT_S5_,"axG",@progbits,_Z18warp_reduce_kernelI12hip_bfloat16Lj64ELj8EENSt9enable_ifIXsr10test_utilsE35device_test_enabled_for_warp_size_vIXT1_EEEvE4typeEPT_S5_,comdat
	.protected	_Z18warp_reduce_kernelI12hip_bfloat16Lj64ELj8EENSt9enable_ifIXsr10test_utilsE35device_test_enabled_for_warp_size_vIXT1_EEEvE4typeEPT_S5_ ; -- Begin function _Z18warp_reduce_kernelI12hip_bfloat16Lj64ELj8EENSt9enable_ifIXsr10test_utilsE35device_test_enabled_for_warp_size_vIXT1_EEEvE4typeEPT_S5_
	.globl	_Z18warp_reduce_kernelI12hip_bfloat16Lj64ELj8EENSt9enable_ifIXsr10test_utilsE35device_test_enabled_for_warp_size_vIXT1_EEEvE4typeEPT_S5_
	.p2align	8
	.type	_Z18warp_reduce_kernelI12hip_bfloat16Lj64ELj8EENSt9enable_ifIXsr10test_utilsE35device_test_enabled_for_warp_size_vIXT1_EEEvE4typeEPT_S5_,@function
_Z18warp_reduce_kernelI12hip_bfloat16Lj64ELj8EENSt9enable_ifIXsr10test_utilsE35device_test_enabled_for_warp_size_vIXT1_EEEvE4typeEPT_S5_: ; @_Z18warp_reduce_kernelI12hip_bfloat16Lj64ELj8EENSt9enable_ifIXsr10test_utilsE35device_test_enabled_for_warp_size_vIXT1_EEEvE4typeEPT_S5_
; %bb.0:
	s_clause 0x1
	s_load_b32 s4, s[0:1], 0x1c
	s_load_b128 s[0:3], s[0:1], 0x0
	s_waitcnt lgkmcnt(0)
	s_and_b32 s4, s4, 0xffff
	s_delay_alu instid0(SALU_CYCLE_1) | instskip(SKIP_1) | instid1(VALU_DEP_1)
	v_mad_u64_u32 v[1:2], null, s15, s4, v[0:1]
	v_mov_b32_e32 v2, 0
	v_lshlrev_b64 v[2:3], 1, v[1:2]
	s_delay_alu instid0(VALU_DEP_1) | instskip(NEXT) | instid1(VALU_DEP_2)
	v_add_co_u32 v2, vcc_lo, s0, v2
	v_add_co_ci_u32_e32 v3, vcc_lo, s1, v3, vcc_lo
	global_load_u16 v4, v[2:3], off
	v_mbcnt_lo_u32_b32 v2, -1, 0
	s_delay_alu instid0(VALU_DEP_1) | instskip(NEXT) | instid1(VALU_DEP_1)
	v_and_b32_e32 v3, 7, v2
	v_cmp_ne_u32_e32 vcc_lo, 7, v3
	v_add_co_ci_u32_e32 v5, vcc_lo, 0, v2, vcc_lo
	s_delay_alu instid0(VALU_DEP_1)
	v_lshlrev_b32_e32 v5, 2, v5
	s_waitcnt vmcnt(0)
	ds_bpermute_b32 v5, v5, v4
	v_lshlrev_b32_e32 v4, 16, v4
	s_waitcnt lgkmcnt(0)
	v_lshlrev_b32_e32 v5, 16, v5
	s_delay_alu instid0(VALU_DEP_1) | instskip(NEXT) | instid1(VALU_DEP_1)
	v_add_f32_e32 v5, v4, v5
	v_and_b32_e32 v4, 0x7f800000, v5
	s_delay_alu instid0(VALU_DEP_1) | instskip(SKIP_1) | instid1(SALU_CYCLE_1)
	v_cmp_ne_u32_e32 vcc_lo, 0x7f800000, v4
                                        ; implicit-def: $vgpr4
	s_and_saveexec_b32 s0, vcc_lo
	s_xor_b32 s0, exec_lo, s0
; %bb.1:
	v_bfe_u32 v4, v5, 16, 1
	s_delay_alu instid0(VALU_DEP_1)
	v_add3_u32 v4, v5, v4, 0x7fff
                                        ; implicit-def: $vgpr5
; %bb.2:
	s_and_not1_saveexec_b32 s0, s0
; %bb.3:
	v_and_b32_e32 v4, 0xffff, v5
	v_or_b32_e32 v6, 0x10000, v5
	s_delay_alu instid0(VALU_DEP_2) | instskip(NEXT) | instid1(VALU_DEP_2)
	v_cmp_eq_u32_e32 vcc_lo, 0, v4
	v_cndmask_b32_e32 v4, v6, v5, vcc_lo
; %bb.4:
	s_or_b32 exec_lo, exec_lo, s0
	v_cmp_gt_u32_e32 vcc_lo, 6, v3
	s_delay_alu instid0(VALU_DEP_2) | instskip(SKIP_2) | instid1(VALU_DEP_1)
	v_lshrrev_b32_e32 v6, 16, v4
	v_and_b32_e32 v4, 0xffff0000, v4
	v_cndmask_b32_e64 v5, 0, 1, vcc_lo
	v_lshlrev_b32_e32 v5, 1, v5
	s_delay_alu instid0(VALU_DEP_1) | instskip(SKIP_3) | instid1(VALU_DEP_1)
	v_add_lshl_u32 v5, v5, v2, 2
	ds_bpermute_b32 v5, v5, v6
	s_waitcnt lgkmcnt(0)
	v_lshlrev_b32_e32 v5, 16, v5
	v_add_f32_e32 v5, v4, v5
	s_delay_alu instid0(VALU_DEP_1) | instskip(NEXT) | instid1(VALU_DEP_1)
	v_and_b32_e32 v4, 0x7f800000, v5
	v_cmp_ne_u32_e32 vcc_lo, 0x7f800000, v4
                                        ; implicit-def: $vgpr4
	s_and_saveexec_b32 s0, vcc_lo
	s_delay_alu instid0(SALU_CYCLE_1)
	s_xor_b32 s0, exec_lo, s0
; %bb.5:
	v_bfe_u32 v4, v5, 16, 1
	s_delay_alu instid0(VALU_DEP_1)
	v_add3_u32 v4, v5, v4, 0x7fff
                                        ; implicit-def: $vgpr5
; %bb.6:
	s_and_not1_saveexec_b32 s0, s0
; %bb.7:
	v_and_b32_e32 v4, 0xffff, v5
	v_or_b32_e32 v6, 0x10000, v5
	s_delay_alu instid0(VALU_DEP_2) | instskip(NEXT) | instid1(VALU_DEP_2)
	v_cmp_eq_u32_e32 vcc_lo, 0, v4
	v_cndmask_b32_e32 v4, v6, v5, vcc_lo
; %bb.8:
	s_or_b32 exec_lo, exec_lo, s0
	v_cmp_gt_u32_e32 vcc_lo, 4, v3
	s_delay_alu instid0(VALU_DEP_2) | instskip(SKIP_1) | instid1(VALU_DEP_1)
	v_lshrrev_b32_e32 v5, 16, v4
	v_cndmask_b32_e64 v3, 0, 1, vcc_lo
	v_lshlrev_b32_e32 v3, 2, v3
	s_delay_alu instid0(VALU_DEP_1) | instskip(SKIP_4) | instid1(VALU_DEP_1)
	v_add_lshl_u32 v2, v3, v2, 2
	v_and_b32_e32 v3, 0xffff0000, v4
	ds_bpermute_b32 v2, v2, v5
	s_waitcnt lgkmcnt(0)
	v_lshlrev_b32_e32 v2, 16, v2
	v_add_f32_e32 v3, v3, v2
	s_delay_alu instid0(VALU_DEP_1) | instskip(NEXT) | instid1(VALU_DEP_1)
	v_and_b32_e32 v2, 0x7f800000, v3
	v_cmp_ne_u32_e32 vcc_lo, 0x7f800000, v2
                                        ; implicit-def: $vgpr2
	s_and_saveexec_b32 s0, vcc_lo
	s_delay_alu instid0(SALU_CYCLE_1)
	s_xor_b32 s0, exec_lo, s0
; %bb.9:
	v_bfe_u32 v2, v3, 16, 1
	s_delay_alu instid0(VALU_DEP_1)
	v_add3_u32 v2, v3, v2, 0x7fff
                                        ; implicit-def: $vgpr3
; %bb.10:
	s_and_not1_saveexec_b32 s0, s0
; %bb.11:
	v_and_b32_e32 v2, 0xffff, v3
	v_or_b32_e32 v4, 0x10000, v3
	s_delay_alu instid0(VALU_DEP_2) | instskip(NEXT) | instid1(VALU_DEP_2)
	v_cmp_eq_u32_e32 vcc_lo, 0, v2
	v_cndmask_b32_e32 v2, v4, v3, vcc_lo
; %bb.12:
	s_or_b32 exec_lo, exec_lo, s0
	v_and_b32_e32 v0, 7, v0
	s_mov_b32 s0, exec_lo
	s_delay_alu instid0(VALU_DEP_1)
	v_cmpx_eq_u32_e32 0, v0
	s_cbranch_execz .LBB24_14
; %bb.13:
	v_lshrrev_b32_e32 v0, 2, v1
	s_delay_alu instid0(VALU_DEP_1)
	v_and_b32_e32 v0, 0x3ffffffe, v0
	global_store_d16_hi_b16 v0, v2, s[2:3]
.LBB24_14:
	s_nop 0
	s_sendmsg sendmsg(MSG_DEALLOC_VGPRS)
	s_endpgm
	.section	.rodata,"a",@progbits
	.p2align	6, 0x0
	.amdhsa_kernel _Z18warp_reduce_kernelI12hip_bfloat16Lj64ELj8EENSt9enable_ifIXsr10test_utilsE35device_test_enabled_for_warp_size_vIXT1_EEEvE4typeEPT_S5_
		.amdhsa_group_segment_fixed_size 0
		.amdhsa_private_segment_fixed_size 0
		.amdhsa_kernarg_size 272
		.amdhsa_user_sgpr_count 15
		.amdhsa_user_sgpr_dispatch_ptr 0
		.amdhsa_user_sgpr_queue_ptr 0
		.amdhsa_user_sgpr_kernarg_segment_ptr 1
		.amdhsa_user_sgpr_dispatch_id 0
		.amdhsa_user_sgpr_private_segment_size 0
		.amdhsa_wavefront_size32 1
		.amdhsa_uses_dynamic_stack 0
		.amdhsa_enable_private_segment 0
		.amdhsa_system_sgpr_workgroup_id_x 1
		.amdhsa_system_sgpr_workgroup_id_y 0
		.amdhsa_system_sgpr_workgroup_id_z 0
		.amdhsa_system_sgpr_workgroup_info 0
		.amdhsa_system_vgpr_workitem_id 0
		.amdhsa_next_free_vgpr 7
		.amdhsa_next_free_sgpr 16
		.amdhsa_reserve_vcc 1
		.amdhsa_float_round_mode_32 0
		.amdhsa_float_round_mode_16_64 0
		.amdhsa_float_denorm_mode_32 3
		.amdhsa_float_denorm_mode_16_64 3
		.amdhsa_dx10_clamp 1
		.amdhsa_ieee_mode 1
		.amdhsa_fp16_overflow 0
		.amdhsa_workgroup_processor_mode 1
		.amdhsa_memory_ordered 1
		.amdhsa_forward_progress 0
		.amdhsa_shared_vgpr_count 0
		.amdhsa_exception_fp_ieee_invalid_op 0
		.amdhsa_exception_fp_denorm_src 0
		.amdhsa_exception_fp_ieee_div_zero 0
		.amdhsa_exception_fp_ieee_overflow 0
		.amdhsa_exception_fp_ieee_underflow 0
		.amdhsa_exception_fp_ieee_inexact 0
		.amdhsa_exception_int_div_zero 0
	.end_amdhsa_kernel
	.section	.text._Z18warp_reduce_kernelI12hip_bfloat16Lj64ELj8EENSt9enable_ifIXsr10test_utilsE35device_test_enabled_for_warp_size_vIXT1_EEEvE4typeEPT_S5_,"axG",@progbits,_Z18warp_reduce_kernelI12hip_bfloat16Lj64ELj8EENSt9enable_ifIXsr10test_utilsE35device_test_enabled_for_warp_size_vIXT1_EEEvE4typeEPT_S5_,comdat
.Lfunc_end24:
	.size	_Z18warp_reduce_kernelI12hip_bfloat16Lj64ELj8EENSt9enable_ifIXsr10test_utilsE35device_test_enabled_for_warp_size_vIXT1_EEEvE4typeEPT_S5_, .Lfunc_end24-_Z18warp_reduce_kernelI12hip_bfloat16Lj64ELj8EENSt9enable_ifIXsr10test_utilsE35device_test_enabled_for_warp_size_vIXT1_EEEvE4typeEPT_S5_
                                        ; -- End function
	.section	.AMDGPU.csdata,"",@progbits
; Kernel info:
; codeLenInByte = 600
; NumSgprs: 18
; NumVgprs: 7
; ScratchSize: 0
; MemoryBound: 0
; FloatMode: 240
; IeeeMode: 1
; LDSByteSize: 0 bytes/workgroup (compile time only)
; SGPRBlocks: 2
; VGPRBlocks: 0
; NumSGPRsForWavesPerEU: 18
; NumVGPRsForWavesPerEU: 7
; Occupancy: 16
; WaveLimiterHint : 0
; COMPUTE_PGM_RSRC2:SCRATCH_EN: 0
; COMPUTE_PGM_RSRC2:USER_SGPR: 15
; COMPUTE_PGM_RSRC2:TRAP_HANDLER: 0
; COMPUTE_PGM_RSRC2:TGID_X_EN: 1
; COMPUTE_PGM_RSRC2:TGID_Y_EN: 0
; COMPUTE_PGM_RSRC2:TGID_Z_EN: 0
; COMPUTE_PGM_RSRC2:TIDIG_COMP_CNT: 0
	.section	.text._Z18warp_reduce_kernelI12hip_bfloat16Lj32ELj4EENSt9enable_ifIXsr10test_utilsE35device_test_enabled_for_warp_size_vIXT1_EEEvE4typeEPT_S5_,"axG",@progbits,_Z18warp_reduce_kernelI12hip_bfloat16Lj32ELj4EENSt9enable_ifIXsr10test_utilsE35device_test_enabled_for_warp_size_vIXT1_EEEvE4typeEPT_S5_,comdat
	.protected	_Z18warp_reduce_kernelI12hip_bfloat16Lj32ELj4EENSt9enable_ifIXsr10test_utilsE35device_test_enabled_for_warp_size_vIXT1_EEEvE4typeEPT_S5_ ; -- Begin function _Z18warp_reduce_kernelI12hip_bfloat16Lj32ELj4EENSt9enable_ifIXsr10test_utilsE35device_test_enabled_for_warp_size_vIXT1_EEEvE4typeEPT_S5_
	.globl	_Z18warp_reduce_kernelI12hip_bfloat16Lj32ELj4EENSt9enable_ifIXsr10test_utilsE35device_test_enabled_for_warp_size_vIXT1_EEEvE4typeEPT_S5_
	.p2align	8
	.type	_Z18warp_reduce_kernelI12hip_bfloat16Lj32ELj4EENSt9enable_ifIXsr10test_utilsE35device_test_enabled_for_warp_size_vIXT1_EEEvE4typeEPT_S5_,@function
_Z18warp_reduce_kernelI12hip_bfloat16Lj32ELj4EENSt9enable_ifIXsr10test_utilsE35device_test_enabled_for_warp_size_vIXT1_EEEvE4typeEPT_S5_: ; @_Z18warp_reduce_kernelI12hip_bfloat16Lj32ELj4EENSt9enable_ifIXsr10test_utilsE35device_test_enabled_for_warp_size_vIXT1_EEEvE4typeEPT_S5_
; %bb.0:
	s_clause 0x1
	s_load_b32 s4, s[0:1], 0x1c
	s_load_b128 s[0:3], s[0:1], 0x0
	s_waitcnt lgkmcnt(0)
	s_and_b32 s4, s4, 0xffff
	s_delay_alu instid0(SALU_CYCLE_1) | instskip(SKIP_1) | instid1(VALU_DEP_1)
	v_mad_u64_u32 v[1:2], null, s15, s4, v[0:1]
	v_mov_b32_e32 v2, 0
	v_lshlrev_b64 v[2:3], 1, v[1:2]
	s_delay_alu instid0(VALU_DEP_1) | instskip(NEXT) | instid1(VALU_DEP_2)
	v_add_co_u32 v2, vcc_lo, s0, v2
	v_add_co_ci_u32_e32 v3, vcc_lo, s1, v3, vcc_lo
	global_load_u16 v4, v[2:3], off
	v_mbcnt_lo_u32_b32 v2, -1, 0
	s_delay_alu instid0(VALU_DEP_1) | instskip(NEXT) | instid1(VALU_DEP_1)
	v_and_b32_e32 v3, 3, v2
	v_cmp_ne_u32_e32 vcc_lo, 3, v3
	v_add_co_ci_u32_e32 v5, vcc_lo, 0, v2, vcc_lo
	s_delay_alu instid0(VALU_DEP_1)
	v_lshlrev_b32_e32 v5, 2, v5
	s_waitcnt vmcnt(0)
	ds_bpermute_b32 v5, v5, v4
	v_lshlrev_b32_e32 v4, 16, v4
	s_waitcnt lgkmcnt(0)
	v_lshlrev_b32_e32 v5, 16, v5
	s_delay_alu instid0(VALU_DEP_1) | instskip(NEXT) | instid1(VALU_DEP_1)
	v_add_f32_e32 v5, v4, v5
	v_and_b32_e32 v4, 0x7f800000, v5
	s_delay_alu instid0(VALU_DEP_1) | instskip(SKIP_1) | instid1(SALU_CYCLE_1)
	v_cmp_ne_u32_e32 vcc_lo, 0x7f800000, v4
                                        ; implicit-def: $vgpr4
	s_and_saveexec_b32 s0, vcc_lo
	s_xor_b32 s0, exec_lo, s0
; %bb.1:
	v_bfe_u32 v4, v5, 16, 1
	s_delay_alu instid0(VALU_DEP_1)
	v_add3_u32 v4, v5, v4, 0x7fff
                                        ; implicit-def: $vgpr5
; %bb.2:
	s_and_not1_saveexec_b32 s0, s0
; %bb.3:
	v_and_b32_e32 v4, 0xffff, v5
	v_or_b32_e32 v6, 0x10000, v5
	s_delay_alu instid0(VALU_DEP_2) | instskip(NEXT) | instid1(VALU_DEP_2)
	v_cmp_eq_u32_e32 vcc_lo, 0, v4
	v_cndmask_b32_e32 v4, v6, v5, vcc_lo
; %bb.4:
	s_or_b32 exec_lo, exec_lo, s0
	v_cmp_gt_u32_e32 vcc_lo, 2, v3
	s_delay_alu instid0(VALU_DEP_2) | instskip(SKIP_1) | instid1(VALU_DEP_1)
	v_lshrrev_b32_e32 v5, 16, v4
	v_cndmask_b32_e64 v3, 0, 1, vcc_lo
	v_lshlrev_b32_e32 v3, 1, v3
	s_delay_alu instid0(VALU_DEP_1) | instskip(SKIP_4) | instid1(VALU_DEP_1)
	v_add_lshl_u32 v2, v3, v2, 2
	v_and_b32_e32 v3, 0xffff0000, v4
	ds_bpermute_b32 v2, v2, v5
	s_waitcnt lgkmcnt(0)
	v_lshlrev_b32_e32 v2, 16, v2
	v_add_f32_e32 v3, v3, v2
	s_delay_alu instid0(VALU_DEP_1) | instskip(NEXT) | instid1(VALU_DEP_1)
	v_and_b32_e32 v2, 0x7f800000, v3
	v_cmp_ne_u32_e32 vcc_lo, 0x7f800000, v2
                                        ; implicit-def: $vgpr2
	s_and_saveexec_b32 s0, vcc_lo
	s_delay_alu instid0(SALU_CYCLE_1)
	s_xor_b32 s0, exec_lo, s0
; %bb.5:
	v_bfe_u32 v2, v3, 16, 1
	s_delay_alu instid0(VALU_DEP_1)
	v_add3_u32 v2, v3, v2, 0x7fff
                                        ; implicit-def: $vgpr3
; %bb.6:
	s_and_not1_saveexec_b32 s0, s0
; %bb.7:
	v_and_b32_e32 v2, 0xffff, v3
	v_or_b32_e32 v4, 0x10000, v3
	s_delay_alu instid0(VALU_DEP_2) | instskip(NEXT) | instid1(VALU_DEP_2)
	v_cmp_eq_u32_e32 vcc_lo, 0, v2
	v_cndmask_b32_e32 v2, v4, v3, vcc_lo
; %bb.8:
	s_or_b32 exec_lo, exec_lo, s0
	v_and_b32_e32 v0, 3, v0
	s_mov_b32 s0, exec_lo
	s_delay_alu instid0(VALU_DEP_1)
	v_cmpx_eq_u32_e32 0, v0
	s_cbranch_execz .LBB25_10
; %bb.9:
	v_lshrrev_b32_e32 v0, 1, v1
	s_delay_alu instid0(VALU_DEP_1)
	v_and_b32_e32 v0, 0x7ffffffe, v0
	global_store_d16_hi_b16 v0, v2, s[2:3]
.LBB25_10:
	s_nop 0
	s_sendmsg sendmsg(MSG_DEALLOC_VGPRS)
	s_endpgm
	.section	.rodata,"a",@progbits
	.p2align	6, 0x0
	.amdhsa_kernel _Z18warp_reduce_kernelI12hip_bfloat16Lj32ELj4EENSt9enable_ifIXsr10test_utilsE35device_test_enabled_for_warp_size_vIXT1_EEEvE4typeEPT_S5_
		.amdhsa_group_segment_fixed_size 0
		.amdhsa_private_segment_fixed_size 0
		.amdhsa_kernarg_size 272
		.amdhsa_user_sgpr_count 15
		.amdhsa_user_sgpr_dispatch_ptr 0
		.amdhsa_user_sgpr_queue_ptr 0
		.amdhsa_user_sgpr_kernarg_segment_ptr 1
		.amdhsa_user_sgpr_dispatch_id 0
		.amdhsa_user_sgpr_private_segment_size 0
		.amdhsa_wavefront_size32 1
		.amdhsa_uses_dynamic_stack 0
		.amdhsa_enable_private_segment 0
		.amdhsa_system_sgpr_workgroup_id_x 1
		.amdhsa_system_sgpr_workgroup_id_y 0
		.amdhsa_system_sgpr_workgroup_id_z 0
		.amdhsa_system_sgpr_workgroup_info 0
		.amdhsa_system_vgpr_workitem_id 0
		.amdhsa_next_free_vgpr 7
		.amdhsa_next_free_sgpr 16
		.amdhsa_reserve_vcc 1
		.amdhsa_float_round_mode_32 0
		.amdhsa_float_round_mode_16_64 0
		.amdhsa_float_denorm_mode_32 3
		.amdhsa_float_denorm_mode_16_64 3
		.amdhsa_dx10_clamp 1
		.amdhsa_ieee_mode 1
		.amdhsa_fp16_overflow 0
		.amdhsa_workgroup_processor_mode 1
		.amdhsa_memory_ordered 1
		.amdhsa_forward_progress 0
		.amdhsa_shared_vgpr_count 0
		.amdhsa_exception_fp_ieee_invalid_op 0
		.amdhsa_exception_fp_denorm_src 0
		.amdhsa_exception_fp_ieee_div_zero 0
		.amdhsa_exception_fp_ieee_overflow 0
		.amdhsa_exception_fp_ieee_underflow 0
		.amdhsa_exception_fp_ieee_inexact 0
		.amdhsa_exception_int_div_zero 0
	.end_amdhsa_kernel
	.section	.text._Z18warp_reduce_kernelI12hip_bfloat16Lj32ELj4EENSt9enable_ifIXsr10test_utilsE35device_test_enabled_for_warp_size_vIXT1_EEEvE4typeEPT_S5_,"axG",@progbits,_Z18warp_reduce_kernelI12hip_bfloat16Lj32ELj4EENSt9enable_ifIXsr10test_utilsE35device_test_enabled_for_warp_size_vIXT1_EEEvE4typeEPT_S5_,comdat
.Lfunc_end25:
	.size	_Z18warp_reduce_kernelI12hip_bfloat16Lj32ELj4EENSt9enable_ifIXsr10test_utilsE35device_test_enabled_for_warp_size_vIXT1_EEEvE4typeEPT_S5_, .Lfunc_end25-_Z18warp_reduce_kernelI12hip_bfloat16Lj32ELj4EENSt9enable_ifIXsr10test_utilsE35device_test_enabled_for_warp_size_vIXT1_EEEvE4typeEPT_S5_
                                        ; -- End function
	.section	.AMDGPU.csdata,"",@progbits
; Kernel info:
; codeLenInByte = 444
; NumSgprs: 18
; NumVgprs: 7
; ScratchSize: 0
; MemoryBound: 0
; FloatMode: 240
; IeeeMode: 1
; LDSByteSize: 0 bytes/workgroup (compile time only)
; SGPRBlocks: 2
; VGPRBlocks: 0
; NumSGPRsForWavesPerEU: 18
; NumVGPRsForWavesPerEU: 7
; Occupancy: 16
; WaveLimiterHint : 0
; COMPUTE_PGM_RSRC2:SCRATCH_EN: 0
; COMPUTE_PGM_RSRC2:USER_SGPR: 15
; COMPUTE_PGM_RSRC2:TRAP_HANDLER: 0
; COMPUTE_PGM_RSRC2:TGID_X_EN: 1
; COMPUTE_PGM_RSRC2:TGID_Y_EN: 0
; COMPUTE_PGM_RSRC2:TGID_Z_EN: 0
; COMPUTE_PGM_RSRC2:TIDIG_COMP_CNT: 0
	.section	.text._Z18warp_reduce_kernelI12hip_bfloat16Lj64ELj4EENSt9enable_ifIXsr10test_utilsE35device_test_enabled_for_warp_size_vIXT1_EEEvE4typeEPT_S5_,"axG",@progbits,_Z18warp_reduce_kernelI12hip_bfloat16Lj64ELj4EENSt9enable_ifIXsr10test_utilsE35device_test_enabled_for_warp_size_vIXT1_EEEvE4typeEPT_S5_,comdat
	.protected	_Z18warp_reduce_kernelI12hip_bfloat16Lj64ELj4EENSt9enable_ifIXsr10test_utilsE35device_test_enabled_for_warp_size_vIXT1_EEEvE4typeEPT_S5_ ; -- Begin function _Z18warp_reduce_kernelI12hip_bfloat16Lj64ELj4EENSt9enable_ifIXsr10test_utilsE35device_test_enabled_for_warp_size_vIXT1_EEEvE4typeEPT_S5_
	.globl	_Z18warp_reduce_kernelI12hip_bfloat16Lj64ELj4EENSt9enable_ifIXsr10test_utilsE35device_test_enabled_for_warp_size_vIXT1_EEEvE4typeEPT_S5_
	.p2align	8
	.type	_Z18warp_reduce_kernelI12hip_bfloat16Lj64ELj4EENSt9enable_ifIXsr10test_utilsE35device_test_enabled_for_warp_size_vIXT1_EEEvE4typeEPT_S5_,@function
_Z18warp_reduce_kernelI12hip_bfloat16Lj64ELj4EENSt9enable_ifIXsr10test_utilsE35device_test_enabled_for_warp_size_vIXT1_EEEvE4typeEPT_S5_: ; @_Z18warp_reduce_kernelI12hip_bfloat16Lj64ELj4EENSt9enable_ifIXsr10test_utilsE35device_test_enabled_for_warp_size_vIXT1_EEEvE4typeEPT_S5_
; %bb.0:
	s_clause 0x1
	s_load_b32 s4, s[0:1], 0x1c
	s_load_b128 s[0:3], s[0:1], 0x0
	s_waitcnt lgkmcnt(0)
	s_and_b32 s4, s4, 0xffff
	s_delay_alu instid0(SALU_CYCLE_1) | instskip(SKIP_1) | instid1(VALU_DEP_1)
	v_mad_u64_u32 v[1:2], null, s15, s4, v[0:1]
	v_mov_b32_e32 v2, 0
	v_lshlrev_b64 v[2:3], 1, v[1:2]
	s_delay_alu instid0(VALU_DEP_1) | instskip(NEXT) | instid1(VALU_DEP_2)
	v_add_co_u32 v2, vcc_lo, s0, v2
	v_add_co_ci_u32_e32 v3, vcc_lo, s1, v3, vcc_lo
	global_load_u16 v4, v[2:3], off
	v_mbcnt_lo_u32_b32 v2, -1, 0
	s_delay_alu instid0(VALU_DEP_1) | instskip(NEXT) | instid1(VALU_DEP_1)
	v_and_b32_e32 v3, 3, v2
	v_cmp_ne_u32_e32 vcc_lo, 3, v3
	v_add_co_ci_u32_e32 v5, vcc_lo, 0, v2, vcc_lo
	s_delay_alu instid0(VALU_DEP_1)
	v_lshlrev_b32_e32 v5, 2, v5
	s_waitcnt vmcnt(0)
	ds_bpermute_b32 v5, v5, v4
	v_lshlrev_b32_e32 v4, 16, v4
	s_waitcnt lgkmcnt(0)
	v_lshlrev_b32_e32 v5, 16, v5
	s_delay_alu instid0(VALU_DEP_1) | instskip(NEXT) | instid1(VALU_DEP_1)
	v_add_f32_e32 v5, v4, v5
	v_and_b32_e32 v4, 0x7f800000, v5
	s_delay_alu instid0(VALU_DEP_1) | instskip(SKIP_1) | instid1(SALU_CYCLE_1)
	v_cmp_ne_u32_e32 vcc_lo, 0x7f800000, v4
                                        ; implicit-def: $vgpr4
	s_and_saveexec_b32 s0, vcc_lo
	s_xor_b32 s0, exec_lo, s0
; %bb.1:
	v_bfe_u32 v4, v5, 16, 1
	s_delay_alu instid0(VALU_DEP_1)
	v_add3_u32 v4, v5, v4, 0x7fff
                                        ; implicit-def: $vgpr5
; %bb.2:
	s_and_not1_saveexec_b32 s0, s0
; %bb.3:
	v_and_b32_e32 v4, 0xffff, v5
	v_or_b32_e32 v6, 0x10000, v5
	s_delay_alu instid0(VALU_DEP_2) | instskip(NEXT) | instid1(VALU_DEP_2)
	v_cmp_eq_u32_e32 vcc_lo, 0, v4
	v_cndmask_b32_e32 v4, v6, v5, vcc_lo
; %bb.4:
	s_or_b32 exec_lo, exec_lo, s0
	v_cmp_gt_u32_e32 vcc_lo, 2, v3
	s_delay_alu instid0(VALU_DEP_2) | instskip(SKIP_1) | instid1(VALU_DEP_1)
	v_lshrrev_b32_e32 v5, 16, v4
	v_cndmask_b32_e64 v3, 0, 1, vcc_lo
	v_lshlrev_b32_e32 v3, 1, v3
	s_delay_alu instid0(VALU_DEP_1) | instskip(SKIP_4) | instid1(VALU_DEP_1)
	v_add_lshl_u32 v2, v3, v2, 2
	v_and_b32_e32 v3, 0xffff0000, v4
	ds_bpermute_b32 v2, v2, v5
	s_waitcnt lgkmcnt(0)
	v_lshlrev_b32_e32 v2, 16, v2
	v_add_f32_e32 v3, v3, v2
	s_delay_alu instid0(VALU_DEP_1) | instskip(NEXT) | instid1(VALU_DEP_1)
	v_and_b32_e32 v2, 0x7f800000, v3
	v_cmp_ne_u32_e32 vcc_lo, 0x7f800000, v2
                                        ; implicit-def: $vgpr2
	s_and_saveexec_b32 s0, vcc_lo
	s_delay_alu instid0(SALU_CYCLE_1)
	s_xor_b32 s0, exec_lo, s0
; %bb.5:
	v_bfe_u32 v2, v3, 16, 1
	s_delay_alu instid0(VALU_DEP_1)
	v_add3_u32 v2, v3, v2, 0x7fff
                                        ; implicit-def: $vgpr3
; %bb.6:
	s_and_not1_saveexec_b32 s0, s0
; %bb.7:
	v_and_b32_e32 v2, 0xffff, v3
	v_or_b32_e32 v4, 0x10000, v3
	s_delay_alu instid0(VALU_DEP_2) | instskip(NEXT) | instid1(VALU_DEP_2)
	v_cmp_eq_u32_e32 vcc_lo, 0, v2
	v_cndmask_b32_e32 v2, v4, v3, vcc_lo
; %bb.8:
	s_or_b32 exec_lo, exec_lo, s0
	v_and_b32_e32 v0, 3, v0
	s_mov_b32 s0, exec_lo
	s_delay_alu instid0(VALU_DEP_1)
	v_cmpx_eq_u32_e32 0, v0
	s_cbranch_execz .LBB26_10
; %bb.9:
	v_lshrrev_b32_e32 v0, 1, v1
	s_delay_alu instid0(VALU_DEP_1)
	v_and_b32_e32 v0, 0x7ffffffe, v0
	global_store_d16_hi_b16 v0, v2, s[2:3]
.LBB26_10:
	s_nop 0
	s_sendmsg sendmsg(MSG_DEALLOC_VGPRS)
	s_endpgm
	.section	.rodata,"a",@progbits
	.p2align	6, 0x0
	.amdhsa_kernel _Z18warp_reduce_kernelI12hip_bfloat16Lj64ELj4EENSt9enable_ifIXsr10test_utilsE35device_test_enabled_for_warp_size_vIXT1_EEEvE4typeEPT_S5_
		.amdhsa_group_segment_fixed_size 0
		.amdhsa_private_segment_fixed_size 0
		.amdhsa_kernarg_size 272
		.amdhsa_user_sgpr_count 15
		.amdhsa_user_sgpr_dispatch_ptr 0
		.amdhsa_user_sgpr_queue_ptr 0
		.amdhsa_user_sgpr_kernarg_segment_ptr 1
		.amdhsa_user_sgpr_dispatch_id 0
		.amdhsa_user_sgpr_private_segment_size 0
		.amdhsa_wavefront_size32 1
		.amdhsa_uses_dynamic_stack 0
		.amdhsa_enable_private_segment 0
		.amdhsa_system_sgpr_workgroup_id_x 1
		.amdhsa_system_sgpr_workgroup_id_y 0
		.amdhsa_system_sgpr_workgroup_id_z 0
		.amdhsa_system_sgpr_workgroup_info 0
		.amdhsa_system_vgpr_workitem_id 0
		.amdhsa_next_free_vgpr 7
		.amdhsa_next_free_sgpr 16
		.amdhsa_reserve_vcc 1
		.amdhsa_float_round_mode_32 0
		.amdhsa_float_round_mode_16_64 0
		.amdhsa_float_denorm_mode_32 3
		.amdhsa_float_denorm_mode_16_64 3
		.amdhsa_dx10_clamp 1
		.amdhsa_ieee_mode 1
		.amdhsa_fp16_overflow 0
		.amdhsa_workgroup_processor_mode 1
		.amdhsa_memory_ordered 1
		.amdhsa_forward_progress 0
		.amdhsa_shared_vgpr_count 0
		.amdhsa_exception_fp_ieee_invalid_op 0
		.amdhsa_exception_fp_denorm_src 0
		.amdhsa_exception_fp_ieee_div_zero 0
		.amdhsa_exception_fp_ieee_overflow 0
		.amdhsa_exception_fp_ieee_underflow 0
		.amdhsa_exception_fp_ieee_inexact 0
		.amdhsa_exception_int_div_zero 0
	.end_amdhsa_kernel
	.section	.text._Z18warp_reduce_kernelI12hip_bfloat16Lj64ELj4EENSt9enable_ifIXsr10test_utilsE35device_test_enabled_for_warp_size_vIXT1_EEEvE4typeEPT_S5_,"axG",@progbits,_Z18warp_reduce_kernelI12hip_bfloat16Lj64ELj4EENSt9enable_ifIXsr10test_utilsE35device_test_enabled_for_warp_size_vIXT1_EEEvE4typeEPT_S5_,comdat
.Lfunc_end26:
	.size	_Z18warp_reduce_kernelI12hip_bfloat16Lj64ELj4EENSt9enable_ifIXsr10test_utilsE35device_test_enabled_for_warp_size_vIXT1_EEEvE4typeEPT_S5_, .Lfunc_end26-_Z18warp_reduce_kernelI12hip_bfloat16Lj64ELj4EENSt9enable_ifIXsr10test_utilsE35device_test_enabled_for_warp_size_vIXT1_EEEvE4typeEPT_S5_
                                        ; -- End function
	.section	.AMDGPU.csdata,"",@progbits
; Kernel info:
; codeLenInByte = 444
; NumSgprs: 18
; NumVgprs: 7
; ScratchSize: 0
; MemoryBound: 0
; FloatMode: 240
; IeeeMode: 1
; LDSByteSize: 0 bytes/workgroup (compile time only)
; SGPRBlocks: 2
; VGPRBlocks: 0
; NumSGPRsForWavesPerEU: 18
; NumVGPRsForWavesPerEU: 7
; Occupancy: 16
; WaveLimiterHint : 0
; COMPUTE_PGM_RSRC2:SCRATCH_EN: 0
; COMPUTE_PGM_RSRC2:USER_SGPR: 15
; COMPUTE_PGM_RSRC2:TRAP_HANDLER: 0
; COMPUTE_PGM_RSRC2:TGID_X_EN: 1
; COMPUTE_PGM_RSRC2:TGID_Y_EN: 0
; COMPUTE_PGM_RSRC2:TGID_Z_EN: 0
; COMPUTE_PGM_RSRC2:TIDIG_COMP_CNT: 0
	.section	.text._Z18warp_reduce_kernelI12hip_bfloat16Lj32ELj2EENSt9enable_ifIXsr10test_utilsE35device_test_enabled_for_warp_size_vIXT1_EEEvE4typeEPT_S5_,"axG",@progbits,_Z18warp_reduce_kernelI12hip_bfloat16Lj32ELj2EENSt9enable_ifIXsr10test_utilsE35device_test_enabled_for_warp_size_vIXT1_EEEvE4typeEPT_S5_,comdat
	.protected	_Z18warp_reduce_kernelI12hip_bfloat16Lj32ELj2EENSt9enable_ifIXsr10test_utilsE35device_test_enabled_for_warp_size_vIXT1_EEEvE4typeEPT_S5_ ; -- Begin function _Z18warp_reduce_kernelI12hip_bfloat16Lj32ELj2EENSt9enable_ifIXsr10test_utilsE35device_test_enabled_for_warp_size_vIXT1_EEEvE4typeEPT_S5_
	.globl	_Z18warp_reduce_kernelI12hip_bfloat16Lj32ELj2EENSt9enable_ifIXsr10test_utilsE35device_test_enabled_for_warp_size_vIXT1_EEEvE4typeEPT_S5_
	.p2align	8
	.type	_Z18warp_reduce_kernelI12hip_bfloat16Lj32ELj2EENSt9enable_ifIXsr10test_utilsE35device_test_enabled_for_warp_size_vIXT1_EEEvE4typeEPT_S5_,@function
_Z18warp_reduce_kernelI12hip_bfloat16Lj32ELj2EENSt9enable_ifIXsr10test_utilsE35device_test_enabled_for_warp_size_vIXT1_EEEvE4typeEPT_S5_: ; @_Z18warp_reduce_kernelI12hip_bfloat16Lj32ELj2EENSt9enable_ifIXsr10test_utilsE35device_test_enabled_for_warp_size_vIXT1_EEEvE4typeEPT_S5_
; %bb.0:
	s_clause 0x1
	s_load_b32 s4, s[0:1], 0x1c
	s_load_b128 s[0:3], s[0:1], 0x0
	s_waitcnt lgkmcnt(0)
	s_and_b32 s4, s4, 0xffff
	s_delay_alu instid0(SALU_CYCLE_1) | instskip(SKIP_1) | instid1(VALU_DEP_1)
	v_mad_u64_u32 v[1:2], null, s15, s4, v[0:1]
	v_mov_b32_e32 v2, 0
	v_lshlrev_b64 v[2:3], 1, v[1:2]
	s_delay_alu instid0(VALU_DEP_1) | instskip(NEXT) | instid1(VALU_DEP_2)
	v_add_co_u32 v2, vcc_lo, s0, v2
	v_add_co_ci_u32_e32 v3, vcc_lo, s1, v3, vcc_lo
	global_load_u16 v2, v[2:3], off
	v_mbcnt_lo_u32_b32 v3, -1, 0
	s_delay_alu instid0(VALU_DEP_1)
	v_lshl_or_b32 v3, v3, 2, 4
	s_waitcnt vmcnt(0)
	ds_bpermute_b32 v3, v3, v2
	v_lshlrev_b32_e32 v2, 16, v2
	s_waitcnt lgkmcnt(0)
	v_lshlrev_b32_e32 v3, 16, v3
	s_delay_alu instid0(VALU_DEP_1) | instskip(NEXT) | instid1(VALU_DEP_1)
	v_add_f32_e32 v3, v2, v3
	v_and_b32_e32 v2, 0x7f800000, v3
	s_delay_alu instid0(VALU_DEP_1) | instskip(SKIP_1) | instid1(SALU_CYCLE_1)
	v_cmp_ne_u32_e32 vcc_lo, 0x7f800000, v2
                                        ; implicit-def: $vgpr2
	s_and_saveexec_b32 s0, vcc_lo
	s_xor_b32 s0, exec_lo, s0
; %bb.1:
	v_bfe_u32 v2, v3, 16, 1
	s_delay_alu instid0(VALU_DEP_1)
	v_add3_u32 v2, v3, v2, 0x7fff
                                        ; implicit-def: $vgpr3
; %bb.2:
	s_and_not1_saveexec_b32 s0, s0
; %bb.3:
	v_and_b32_e32 v2, 0xffff, v3
	v_or_b32_e32 v4, 0x10000, v3
	s_delay_alu instid0(VALU_DEP_2) | instskip(NEXT) | instid1(VALU_DEP_2)
	v_cmp_eq_u32_e32 vcc_lo, 0, v2
	v_cndmask_b32_e32 v2, v4, v3, vcc_lo
; %bb.4:
	s_or_b32 exec_lo, exec_lo, s0
	v_and_b32_e32 v0, 1, v0
	s_mov_b32 s0, exec_lo
	s_delay_alu instid0(VALU_DEP_1)
	v_cmpx_eq_u32_e32 0, v0
	s_cbranch_execz .LBB27_6
; %bb.5:
	v_and_b32_e32 v0, -2, v1
	global_store_d16_hi_b16 v0, v2, s[2:3]
.LBB27_6:
	s_nop 0
	s_sendmsg sendmsg(MSG_DEALLOC_VGPRS)
	s_endpgm
	.section	.rodata,"a",@progbits
	.p2align	6, 0x0
	.amdhsa_kernel _Z18warp_reduce_kernelI12hip_bfloat16Lj32ELj2EENSt9enable_ifIXsr10test_utilsE35device_test_enabled_for_warp_size_vIXT1_EEEvE4typeEPT_S5_
		.amdhsa_group_segment_fixed_size 0
		.amdhsa_private_segment_fixed_size 0
		.amdhsa_kernarg_size 272
		.amdhsa_user_sgpr_count 15
		.amdhsa_user_sgpr_dispatch_ptr 0
		.amdhsa_user_sgpr_queue_ptr 0
		.amdhsa_user_sgpr_kernarg_segment_ptr 1
		.amdhsa_user_sgpr_dispatch_id 0
		.amdhsa_user_sgpr_private_segment_size 0
		.amdhsa_wavefront_size32 1
		.amdhsa_uses_dynamic_stack 0
		.amdhsa_enable_private_segment 0
		.amdhsa_system_sgpr_workgroup_id_x 1
		.amdhsa_system_sgpr_workgroup_id_y 0
		.amdhsa_system_sgpr_workgroup_id_z 0
		.amdhsa_system_sgpr_workgroup_info 0
		.amdhsa_system_vgpr_workitem_id 0
		.amdhsa_next_free_vgpr 5
		.amdhsa_next_free_sgpr 16
		.amdhsa_reserve_vcc 1
		.amdhsa_float_round_mode_32 0
		.amdhsa_float_round_mode_16_64 0
		.amdhsa_float_denorm_mode_32 3
		.amdhsa_float_denorm_mode_16_64 3
		.amdhsa_dx10_clamp 1
		.amdhsa_ieee_mode 1
		.amdhsa_fp16_overflow 0
		.amdhsa_workgroup_processor_mode 1
		.amdhsa_memory_ordered 1
		.amdhsa_forward_progress 0
		.amdhsa_shared_vgpr_count 0
		.amdhsa_exception_fp_ieee_invalid_op 0
		.amdhsa_exception_fp_denorm_src 0
		.amdhsa_exception_fp_ieee_div_zero 0
		.amdhsa_exception_fp_ieee_overflow 0
		.amdhsa_exception_fp_ieee_underflow 0
		.amdhsa_exception_fp_ieee_inexact 0
		.amdhsa_exception_int_div_zero 0
	.end_amdhsa_kernel
	.section	.text._Z18warp_reduce_kernelI12hip_bfloat16Lj32ELj2EENSt9enable_ifIXsr10test_utilsE35device_test_enabled_for_warp_size_vIXT1_EEEvE4typeEPT_S5_,"axG",@progbits,_Z18warp_reduce_kernelI12hip_bfloat16Lj32ELj2EENSt9enable_ifIXsr10test_utilsE35device_test_enabled_for_warp_size_vIXT1_EEEvE4typeEPT_S5_,comdat
.Lfunc_end27:
	.size	_Z18warp_reduce_kernelI12hip_bfloat16Lj32ELj2EENSt9enable_ifIXsr10test_utilsE35device_test_enabled_for_warp_size_vIXT1_EEEvE4typeEPT_S5_, .Lfunc_end27-_Z18warp_reduce_kernelI12hip_bfloat16Lj32ELj2EENSt9enable_ifIXsr10test_utilsE35device_test_enabled_for_warp_size_vIXT1_EEEvE4typeEPT_S5_
                                        ; -- End function
	.section	.AMDGPU.csdata,"",@progbits
; Kernel info:
; codeLenInByte = 264
; NumSgprs: 18
; NumVgprs: 5
; ScratchSize: 0
; MemoryBound: 0
; FloatMode: 240
; IeeeMode: 1
; LDSByteSize: 0 bytes/workgroup (compile time only)
; SGPRBlocks: 2
; VGPRBlocks: 0
; NumSGPRsForWavesPerEU: 18
; NumVGPRsForWavesPerEU: 5
; Occupancy: 16
; WaveLimiterHint : 0
; COMPUTE_PGM_RSRC2:SCRATCH_EN: 0
; COMPUTE_PGM_RSRC2:USER_SGPR: 15
; COMPUTE_PGM_RSRC2:TRAP_HANDLER: 0
; COMPUTE_PGM_RSRC2:TGID_X_EN: 1
; COMPUTE_PGM_RSRC2:TGID_Y_EN: 0
; COMPUTE_PGM_RSRC2:TGID_Z_EN: 0
; COMPUTE_PGM_RSRC2:TIDIG_COMP_CNT: 0
	.section	.text._Z18warp_reduce_kernelI12hip_bfloat16Lj64ELj2EENSt9enable_ifIXsr10test_utilsE35device_test_enabled_for_warp_size_vIXT1_EEEvE4typeEPT_S5_,"axG",@progbits,_Z18warp_reduce_kernelI12hip_bfloat16Lj64ELj2EENSt9enable_ifIXsr10test_utilsE35device_test_enabled_for_warp_size_vIXT1_EEEvE4typeEPT_S5_,comdat
	.protected	_Z18warp_reduce_kernelI12hip_bfloat16Lj64ELj2EENSt9enable_ifIXsr10test_utilsE35device_test_enabled_for_warp_size_vIXT1_EEEvE4typeEPT_S5_ ; -- Begin function _Z18warp_reduce_kernelI12hip_bfloat16Lj64ELj2EENSt9enable_ifIXsr10test_utilsE35device_test_enabled_for_warp_size_vIXT1_EEEvE4typeEPT_S5_
	.globl	_Z18warp_reduce_kernelI12hip_bfloat16Lj64ELj2EENSt9enable_ifIXsr10test_utilsE35device_test_enabled_for_warp_size_vIXT1_EEEvE4typeEPT_S5_
	.p2align	8
	.type	_Z18warp_reduce_kernelI12hip_bfloat16Lj64ELj2EENSt9enable_ifIXsr10test_utilsE35device_test_enabled_for_warp_size_vIXT1_EEEvE4typeEPT_S5_,@function
_Z18warp_reduce_kernelI12hip_bfloat16Lj64ELj2EENSt9enable_ifIXsr10test_utilsE35device_test_enabled_for_warp_size_vIXT1_EEEvE4typeEPT_S5_: ; @_Z18warp_reduce_kernelI12hip_bfloat16Lj64ELj2EENSt9enable_ifIXsr10test_utilsE35device_test_enabled_for_warp_size_vIXT1_EEEvE4typeEPT_S5_
; %bb.0:
	s_clause 0x1
	s_load_b32 s4, s[0:1], 0x1c
	s_load_b128 s[0:3], s[0:1], 0x0
	s_waitcnt lgkmcnt(0)
	s_and_b32 s4, s4, 0xffff
	s_delay_alu instid0(SALU_CYCLE_1) | instskip(SKIP_1) | instid1(VALU_DEP_1)
	v_mad_u64_u32 v[1:2], null, s15, s4, v[0:1]
	v_mov_b32_e32 v2, 0
	v_lshlrev_b64 v[2:3], 1, v[1:2]
	s_delay_alu instid0(VALU_DEP_1) | instskip(NEXT) | instid1(VALU_DEP_2)
	v_add_co_u32 v2, vcc_lo, s0, v2
	v_add_co_ci_u32_e32 v3, vcc_lo, s1, v3, vcc_lo
	global_load_u16 v2, v[2:3], off
	v_mbcnt_lo_u32_b32 v3, -1, 0
	s_delay_alu instid0(VALU_DEP_1)
	v_lshl_or_b32 v3, v3, 2, 4
	s_waitcnt vmcnt(0)
	ds_bpermute_b32 v3, v3, v2
	v_lshlrev_b32_e32 v2, 16, v2
	s_waitcnt lgkmcnt(0)
	v_lshlrev_b32_e32 v3, 16, v3
	s_delay_alu instid0(VALU_DEP_1) | instskip(NEXT) | instid1(VALU_DEP_1)
	v_add_f32_e32 v3, v2, v3
	v_and_b32_e32 v2, 0x7f800000, v3
	s_delay_alu instid0(VALU_DEP_1) | instskip(SKIP_1) | instid1(SALU_CYCLE_1)
	v_cmp_ne_u32_e32 vcc_lo, 0x7f800000, v2
                                        ; implicit-def: $vgpr2
	s_and_saveexec_b32 s0, vcc_lo
	s_xor_b32 s0, exec_lo, s0
; %bb.1:
	v_bfe_u32 v2, v3, 16, 1
	s_delay_alu instid0(VALU_DEP_1)
	v_add3_u32 v2, v3, v2, 0x7fff
                                        ; implicit-def: $vgpr3
; %bb.2:
	s_and_not1_saveexec_b32 s0, s0
; %bb.3:
	v_and_b32_e32 v2, 0xffff, v3
	v_or_b32_e32 v4, 0x10000, v3
	s_delay_alu instid0(VALU_DEP_2) | instskip(NEXT) | instid1(VALU_DEP_2)
	v_cmp_eq_u32_e32 vcc_lo, 0, v2
	v_cndmask_b32_e32 v2, v4, v3, vcc_lo
; %bb.4:
	s_or_b32 exec_lo, exec_lo, s0
	v_and_b32_e32 v0, 1, v0
	s_mov_b32 s0, exec_lo
	s_delay_alu instid0(VALU_DEP_1)
	v_cmpx_eq_u32_e32 0, v0
	s_cbranch_execz .LBB28_6
; %bb.5:
	v_and_b32_e32 v0, -2, v1
	global_store_d16_hi_b16 v0, v2, s[2:3]
.LBB28_6:
	s_nop 0
	s_sendmsg sendmsg(MSG_DEALLOC_VGPRS)
	s_endpgm
	.section	.rodata,"a",@progbits
	.p2align	6, 0x0
	.amdhsa_kernel _Z18warp_reduce_kernelI12hip_bfloat16Lj64ELj2EENSt9enable_ifIXsr10test_utilsE35device_test_enabled_for_warp_size_vIXT1_EEEvE4typeEPT_S5_
		.amdhsa_group_segment_fixed_size 0
		.amdhsa_private_segment_fixed_size 0
		.amdhsa_kernarg_size 272
		.amdhsa_user_sgpr_count 15
		.amdhsa_user_sgpr_dispatch_ptr 0
		.amdhsa_user_sgpr_queue_ptr 0
		.amdhsa_user_sgpr_kernarg_segment_ptr 1
		.amdhsa_user_sgpr_dispatch_id 0
		.amdhsa_user_sgpr_private_segment_size 0
		.amdhsa_wavefront_size32 1
		.amdhsa_uses_dynamic_stack 0
		.amdhsa_enable_private_segment 0
		.amdhsa_system_sgpr_workgroup_id_x 1
		.amdhsa_system_sgpr_workgroup_id_y 0
		.amdhsa_system_sgpr_workgroup_id_z 0
		.amdhsa_system_sgpr_workgroup_info 0
		.amdhsa_system_vgpr_workitem_id 0
		.amdhsa_next_free_vgpr 5
		.amdhsa_next_free_sgpr 16
		.amdhsa_reserve_vcc 1
		.amdhsa_float_round_mode_32 0
		.amdhsa_float_round_mode_16_64 0
		.amdhsa_float_denorm_mode_32 3
		.amdhsa_float_denorm_mode_16_64 3
		.amdhsa_dx10_clamp 1
		.amdhsa_ieee_mode 1
		.amdhsa_fp16_overflow 0
		.amdhsa_workgroup_processor_mode 1
		.amdhsa_memory_ordered 1
		.amdhsa_forward_progress 0
		.amdhsa_shared_vgpr_count 0
		.amdhsa_exception_fp_ieee_invalid_op 0
		.amdhsa_exception_fp_denorm_src 0
		.amdhsa_exception_fp_ieee_div_zero 0
		.amdhsa_exception_fp_ieee_overflow 0
		.amdhsa_exception_fp_ieee_underflow 0
		.amdhsa_exception_fp_ieee_inexact 0
		.amdhsa_exception_int_div_zero 0
	.end_amdhsa_kernel
	.section	.text._Z18warp_reduce_kernelI12hip_bfloat16Lj64ELj2EENSt9enable_ifIXsr10test_utilsE35device_test_enabled_for_warp_size_vIXT1_EEEvE4typeEPT_S5_,"axG",@progbits,_Z18warp_reduce_kernelI12hip_bfloat16Lj64ELj2EENSt9enable_ifIXsr10test_utilsE35device_test_enabled_for_warp_size_vIXT1_EEEvE4typeEPT_S5_,comdat
.Lfunc_end28:
	.size	_Z18warp_reduce_kernelI12hip_bfloat16Lj64ELj2EENSt9enable_ifIXsr10test_utilsE35device_test_enabled_for_warp_size_vIXT1_EEEvE4typeEPT_S5_, .Lfunc_end28-_Z18warp_reduce_kernelI12hip_bfloat16Lj64ELj2EENSt9enable_ifIXsr10test_utilsE35device_test_enabled_for_warp_size_vIXT1_EEEvE4typeEPT_S5_
                                        ; -- End function
	.section	.AMDGPU.csdata,"",@progbits
; Kernel info:
; codeLenInByte = 264
; NumSgprs: 18
; NumVgprs: 5
; ScratchSize: 0
; MemoryBound: 0
; FloatMode: 240
; IeeeMode: 1
; LDSByteSize: 0 bytes/workgroup (compile time only)
; SGPRBlocks: 2
; VGPRBlocks: 0
; NumSGPRsForWavesPerEU: 18
; NumVGPRsForWavesPerEU: 5
; Occupancy: 16
; WaveLimiterHint : 0
; COMPUTE_PGM_RSRC2:SCRATCH_EN: 0
; COMPUTE_PGM_RSRC2:USER_SGPR: 15
; COMPUTE_PGM_RSRC2:TRAP_HANDLER: 0
; COMPUTE_PGM_RSRC2:TGID_X_EN: 1
; COMPUTE_PGM_RSRC2:TGID_Y_EN: 0
; COMPUTE_PGM_RSRC2:TGID_Z_EN: 0
; COMPUTE_PGM_RSRC2:TIDIG_COMP_CNT: 0
	.section	.text._Z18warp_reduce_kernelI12hip_bfloat16Lj32ELj1EENSt9enable_ifIXsr10test_utilsE35device_test_enabled_for_warp_size_vIXT1_EEEvE4typeEPT_S5_,"axG",@progbits,_Z18warp_reduce_kernelI12hip_bfloat16Lj32ELj1EENSt9enable_ifIXsr10test_utilsE35device_test_enabled_for_warp_size_vIXT1_EEEvE4typeEPT_S5_,comdat
	.protected	_Z18warp_reduce_kernelI12hip_bfloat16Lj32ELj1EENSt9enable_ifIXsr10test_utilsE35device_test_enabled_for_warp_size_vIXT1_EEEvE4typeEPT_S5_ ; -- Begin function _Z18warp_reduce_kernelI12hip_bfloat16Lj32ELj1EENSt9enable_ifIXsr10test_utilsE35device_test_enabled_for_warp_size_vIXT1_EEEvE4typeEPT_S5_
	.globl	_Z18warp_reduce_kernelI12hip_bfloat16Lj32ELj1EENSt9enable_ifIXsr10test_utilsE35device_test_enabled_for_warp_size_vIXT1_EEEvE4typeEPT_S5_
	.p2align	8
	.type	_Z18warp_reduce_kernelI12hip_bfloat16Lj32ELj1EENSt9enable_ifIXsr10test_utilsE35device_test_enabled_for_warp_size_vIXT1_EEEvE4typeEPT_S5_,@function
_Z18warp_reduce_kernelI12hip_bfloat16Lj32ELj1EENSt9enable_ifIXsr10test_utilsE35device_test_enabled_for_warp_size_vIXT1_EEEvE4typeEPT_S5_: ; @_Z18warp_reduce_kernelI12hip_bfloat16Lj32ELj1EENSt9enable_ifIXsr10test_utilsE35device_test_enabled_for_warp_size_vIXT1_EEEvE4typeEPT_S5_
; %bb.0:
	s_clause 0x1
	s_load_b32 s4, s[0:1], 0x1c
	s_load_b128 s[0:3], s[0:1], 0x0
	s_waitcnt lgkmcnt(0)
	s_and_b32 s4, s4, 0xffff
	s_delay_alu instid0(SALU_CYCLE_1) | instskip(SKIP_1) | instid1(VALU_DEP_1)
	v_mad_u64_u32 v[1:2], null, s15, s4, v[0:1]
	v_mov_b32_e32 v2, 0
	v_lshlrev_b64 v[0:1], 1, v[1:2]
	s_delay_alu instid0(VALU_DEP_1) | instskip(NEXT) | instid1(VALU_DEP_2)
	v_add_co_u32 v2, vcc_lo, s0, v0
	v_add_co_ci_u32_e32 v3, vcc_lo, s1, v1, vcc_lo
	v_add_co_u32 v0, vcc_lo, s2, v0
	v_add_co_ci_u32_e32 v1, vcc_lo, s3, v1, vcc_lo
	global_load_u16 v2, v[2:3], off
	s_waitcnt vmcnt(0)
	global_store_b16 v[0:1], v2, off
	s_nop 0
	s_sendmsg sendmsg(MSG_DEALLOC_VGPRS)
	s_endpgm
	.section	.rodata,"a",@progbits
	.p2align	6, 0x0
	.amdhsa_kernel _Z18warp_reduce_kernelI12hip_bfloat16Lj32ELj1EENSt9enable_ifIXsr10test_utilsE35device_test_enabled_for_warp_size_vIXT1_EEEvE4typeEPT_S5_
		.amdhsa_group_segment_fixed_size 0
		.amdhsa_private_segment_fixed_size 0
		.amdhsa_kernarg_size 272
		.amdhsa_user_sgpr_count 15
		.amdhsa_user_sgpr_dispatch_ptr 0
		.amdhsa_user_sgpr_queue_ptr 0
		.amdhsa_user_sgpr_kernarg_segment_ptr 1
		.amdhsa_user_sgpr_dispatch_id 0
		.amdhsa_user_sgpr_private_segment_size 0
		.amdhsa_wavefront_size32 1
		.amdhsa_uses_dynamic_stack 0
		.amdhsa_enable_private_segment 0
		.amdhsa_system_sgpr_workgroup_id_x 1
		.amdhsa_system_sgpr_workgroup_id_y 0
		.amdhsa_system_sgpr_workgroup_id_z 0
		.amdhsa_system_sgpr_workgroup_info 0
		.amdhsa_system_vgpr_workitem_id 0
		.amdhsa_next_free_vgpr 4
		.amdhsa_next_free_sgpr 16
		.amdhsa_reserve_vcc 1
		.amdhsa_float_round_mode_32 0
		.amdhsa_float_round_mode_16_64 0
		.amdhsa_float_denorm_mode_32 3
		.amdhsa_float_denorm_mode_16_64 3
		.amdhsa_dx10_clamp 1
		.amdhsa_ieee_mode 1
		.amdhsa_fp16_overflow 0
		.amdhsa_workgroup_processor_mode 1
		.amdhsa_memory_ordered 1
		.amdhsa_forward_progress 0
		.amdhsa_shared_vgpr_count 0
		.amdhsa_exception_fp_ieee_invalid_op 0
		.amdhsa_exception_fp_denorm_src 0
		.amdhsa_exception_fp_ieee_div_zero 0
		.amdhsa_exception_fp_ieee_overflow 0
		.amdhsa_exception_fp_ieee_underflow 0
		.amdhsa_exception_fp_ieee_inexact 0
		.amdhsa_exception_int_div_zero 0
	.end_amdhsa_kernel
	.section	.text._Z18warp_reduce_kernelI12hip_bfloat16Lj32ELj1EENSt9enable_ifIXsr10test_utilsE35device_test_enabled_for_warp_size_vIXT1_EEEvE4typeEPT_S5_,"axG",@progbits,_Z18warp_reduce_kernelI12hip_bfloat16Lj32ELj1EENSt9enable_ifIXsr10test_utilsE35device_test_enabled_for_warp_size_vIXT1_EEEvE4typeEPT_S5_,comdat
.Lfunc_end29:
	.size	_Z18warp_reduce_kernelI12hip_bfloat16Lj32ELj1EENSt9enable_ifIXsr10test_utilsE35device_test_enabled_for_warp_size_vIXT1_EEEvE4typeEPT_S5_, .Lfunc_end29-_Z18warp_reduce_kernelI12hip_bfloat16Lj32ELj1EENSt9enable_ifIXsr10test_utilsE35device_test_enabled_for_warp_size_vIXT1_EEEvE4typeEPT_S5_
                                        ; -- End function
	.section	.AMDGPU.csdata,"",@progbits
; Kernel info:
; codeLenInByte = 116
; NumSgprs: 18
; NumVgprs: 4
; ScratchSize: 0
; MemoryBound: 0
; FloatMode: 240
; IeeeMode: 1
; LDSByteSize: 0 bytes/workgroup (compile time only)
; SGPRBlocks: 2
; VGPRBlocks: 0
; NumSGPRsForWavesPerEU: 18
; NumVGPRsForWavesPerEU: 4
; Occupancy: 16
; WaveLimiterHint : 0
; COMPUTE_PGM_RSRC2:SCRATCH_EN: 0
; COMPUTE_PGM_RSRC2:USER_SGPR: 15
; COMPUTE_PGM_RSRC2:TRAP_HANDLER: 0
; COMPUTE_PGM_RSRC2:TGID_X_EN: 1
; COMPUTE_PGM_RSRC2:TGID_Y_EN: 0
; COMPUTE_PGM_RSRC2:TGID_Z_EN: 0
; COMPUTE_PGM_RSRC2:TIDIG_COMP_CNT: 0
	.section	.text._Z18warp_reduce_kernelI12hip_bfloat16Lj64ELj1EENSt9enable_ifIXsr10test_utilsE35device_test_enabled_for_warp_size_vIXT1_EEEvE4typeEPT_S5_,"axG",@progbits,_Z18warp_reduce_kernelI12hip_bfloat16Lj64ELj1EENSt9enable_ifIXsr10test_utilsE35device_test_enabled_for_warp_size_vIXT1_EEEvE4typeEPT_S5_,comdat
	.protected	_Z18warp_reduce_kernelI12hip_bfloat16Lj64ELj1EENSt9enable_ifIXsr10test_utilsE35device_test_enabled_for_warp_size_vIXT1_EEEvE4typeEPT_S5_ ; -- Begin function _Z18warp_reduce_kernelI12hip_bfloat16Lj64ELj1EENSt9enable_ifIXsr10test_utilsE35device_test_enabled_for_warp_size_vIXT1_EEEvE4typeEPT_S5_
	.globl	_Z18warp_reduce_kernelI12hip_bfloat16Lj64ELj1EENSt9enable_ifIXsr10test_utilsE35device_test_enabled_for_warp_size_vIXT1_EEEvE4typeEPT_S5_
	.p2align	8
	.type	_Z18warp_reduce_kernelI12hip_bfloat16Lj64ELj1EENSt9enable_ifIXsr10test_utilsE35device_test_enabled_for_warp_size_vIXT1_EEEvE4typeEPT_S5_,@function
_Z18warp_reduce_kernelI12hip_bfloat16Lj64ELj1EENSt9enable_ifIXsr10test_utilsE35device_test_enabled_for_warp_size_vIXT1_EEEvE4typeEPT_S5_: ; @_Z18warp_reduce_kernelI12hip_bfloat16Lj64ELj1EENSt9enable_ifIXsr10test_utilsE35device_test_enabled_for_warp_size_vIXT1_EEEvE4typeEPT_S5_
; %bb.0:
	s_clause 0x1
	s_load_b32 s4, s[0:1], 0x1c
	s_load_b128 s[0:3], s[0:1], 0x0
	s_waitcnt lgkmcnt(0)
	s_and_b32 s4, s4, 0xffff
	s_delay_alu instid0(SALU_CYCLE_1) | instskip(SKIP_1) | instid1(VALU_DEP_1)
	v_mad_u64_u32 v[1:2], null, s15, s4, v[0:1]
	v_mov_b32_e32 v2, 0
	v_lshlrev_b64 v[0:1], 1, v[1:2]
	s_delay_alu instid0(VALU_DEP_1) | instskip(NEXT) | instid1(VALU_DEP_2)
	v_add_co_u32 v2, vcc_lo, s0, v0
	v_add_co_ci_u32_e32 v3, vcc_lo, s1, v1, vcc_lo
	v_add_co_u32 v0, vcc_lo, s2, v0
	v_add_co_ci_u32_e32 v1, vcc_lo, s3, v1, vcc_lo
	global_load_u16 v2, v[2:3], off
	s_waitcnt vmcnt(0)
	global_store_b16 v[0:1], v2, off
	s_nop 0
	s_sendmsg sendmsg(MSG_DEALLOC_VGPRS)
	s_endpgm
	.section	.rodata,"a",@progbits
	.p2align	6, 0x0
	.amdhsa_kernel _Z18warp_reduce_kernelI12hip_bfloat16Lj64ELj1EENSt9enable_ifIXsr10test_utilsE35device_test_enabled_for_warp_size_vIXT1_EEEvE4typeEPT_S5_
		.amdhsa_group_segment_fixed_size 0
		.amdhsa_private_segment_fixed_size 0
		.amdhsa_kernarg_size 272
		.amdhsa_user_sgpr_count 15
		.amdhsa_user_sgpr_dispatch_ptr 0
		.amdhsa_user_sgpr_queue_ptr 0
		.amdhsa_user_sgpr_kernarg_segment_ptr 1
		.amdhsa_user_sgpr_dispatch_id 0
		.amdhsa_user_sgpr_private_segment_size 0
		.amdhsa_wavefront_size32 1
		.amdhsa_uses_dynamic_stack 0
		.amdhsa_enable_private_segment 0
		.amdhsa_system_sgpr_workgroup_id_x 1
		.amdhsa_system_sgpr_workgroup_id_y 0
		.amdhsa_system_sgpr_workgroup_id_z 0
		.amdhsa_system_sgpr_workgroup_info 0
		.amdhsa_system_vgpr_workitem_id 0
		.amdhsa_next_free_vgpr 4
		.amdhsa_next_free_sgpr 16
		.amdhsa_reserve_vcc 1
		.amdhsa_float_round_mode_32 0
		.amdhsa_float_round_mode_16_64 0
		.amdhsa_float_denorm_mode_32 3
		.amdhsa_float_denorm_mode_16_64 3
		.amdhsa_dx10_clamp 1
		.amdhsa_ieee_mode 1
		.amdhsa_fp16_overflow 0
		.amdhsa_workgroup_processor_mode 1
		.amdhsa_memory_ordered 1
		.amdhsa_forward_progress 0
		.amdhsa_shared_vgpr_count 0
		.amdhsa_exception_fp_ieee_invalid_op 0
		.amdhsa_exception_fp_denorm_src 0
		.amdhsa_exception_fp_ieee_div_zero 0
		.amdhsa_exception_fp_ieee_overflow 0
		.amdhsa_exception_fp_ieee_underflow 0
		.amdhsa_exception_fp_ieee_inexact 0
		.amdhsa_exception_int_div_zero 0
	.end_amdhsa_kernel
	.section	.text._Z18warp_reduce_kernelI12hip_bfloat16Lj64ELj1EENSt9enable_ifIXsr10test_utilsE35device_test_enabled_for_warp_size_vIXT1_EEEvE4typeEPT_S5_,"axG",@progbits,_Z18warp_reduce_kernelI12hip_bfloat16Lj64ELj1EENSt9enable_ifIXsr10test_utilsE35device_test_enabled_for_warp_size_vIXT1_EEEvE4typeEPT_S5_,comdat
.Lfunc_end30:
	.size	_Z18warp_reduce_kernelI12hip_bfloat16Lj64ELj1EENSt9enable_ifIXsr10test_utilsE35device_test_enabled_for_warp_size_vIXT1_EEEvE4typeEPT_S5_, .Lfunc_end30-_Z18warp_reduce_kernelI12hip_bfloat16Lj64ELj1EENSt9enable_ifIXsr10test_utilsE35device_test_enabled_for_warp_size_vIXT1_EEEvE4typeEPT_S5_
                                        ; -- End function
	.section	.AMDGPU.csdata,"",@progbits
; Kernel info:
; codeLenInByte = 116
; NumSgprs: 18
; NumVgprs: 4
; ScratchSize: 0
; MemoryBound: 0
; FloatMode: 240
; IeeeMode: 1
; LDSByteSize: 0 bytes/workgroup (compile time only)
; SGPRBlocks: 2
; VGPRBlocks: 0
; NumSGPRsForWavesPerEU: 18
; NumVGPRsForWavesPerEU: 4
; Occupancy: 16
; WaveLimiterHint : 0
; COMPUTE_PGM_RSRC2:SCRATCH_EN: 0
; COMPUTE_PGM_RSRC2:USER_SGPR: 15
; COMPUTE_PGM_RSRC2:TRAP_HANDLER: 0
; COMPUTE_PGM_RSRC2:TGID_X_EN: 1
; COMPUTE_PGM_RSRC2:TGID_Y_EN: 0
; COMPUTE_PGM_RSRC2:TGID_Z_EN: 0
; COMPUTE_PGM_RSRC2:TIDIG_COMP_CNT: 0
	.section	.text._Z18warp_reduce_kernelI6__halfLj256ELj64EENSt9enable_ifIXntsr10test_utilsE35device_test_enabled_for_warp_size_vIXT1_EEEvE4typeEPT_S5_,"axG",@progbits,_Z18warp_reduce_kernelI6__halfLj256ELj64EENSt9enable_ifIXntsr10test_utilsE35device_test_enabled_for_warp_size_vIXT1_EEEvE4typeEPT_S5_,comdat
	.protected	_Z18warp_reduce_kernelI6__halfLj256ELj64EENSt9enable_ifIXntsr10test_utilsE35device_test_enabled_for_warp_size_vIXT1_EEEvE4typeEPT_S5_ ; -- Begin function _Z18warp_reduce_kernelI6__halfLj256ELj64EENSt9enable_ifIXntsr10test_utilsE35device_test_enabled_for_warp_size_vIXT1_EEEvE4typeEPT_S5_
	.globl	_Z18warp_reduce_kernelI6__halfLj256ELj64EENSt9enable_ifIXntsr10test_utilsE35device_test_enabled_for_warp_size_vIXT1_EEEvE4typeEPT_S5_
	.p2align	8
	.type	_Z18warp_reduce_kernelI6__halfLj256ELj64EENSt9enable_ifIXntsr10test_utilsE35device_test_enabled_for_warp_size_vIXT1_EEEvE4typeEPT_S5_,@function
_Z18warp_reduce_kernelI6__halfLj256ELj64EENSt9enable_ifIXntsr10test_utilsE35device_test_enabled_for_warp_size_vIXT1_EEEvE4typeEPT_S5_: ; @_Z18warp_reduce_kernelI6__halfLj256ELj64EENSt9enable_ifIXntsr10test_utilsE35device_test_enabled_for_warp_size_vIXT1_EEEvE4typeEPT_S5_
; %bb.0:
	s_endpgm
	.section	.rodata,"a",@progbits
	.p2align	6, 0x0
	.amdhsa_kernel _Z18warp_reduce_kernelI6__halfLj256ELj64EENSt9enable_ifIXntsr10test_utilsE35device_test_enabled_for_warp_size_vIXT1_EEEvE4typeEPT_S5_
		.amdhsa_group_segment_fixed_size 0
		.amdhsa_private_segment_fixed_size 0
		.amdhsa_kernarg_size 16
		.amdhsa_user_sgpr_count 15
		.amdhsa_user_sgpr_dispatch_ptr 0
		.amdhsa_user_sgpr_queue_ptr 0
		.amdhsa_user_sgpr_kernarg_segment_ptr 1
		.amdhsa_user_sgpr_dispatch_id 0
		.amdhsa_user_sgpr_private_segment_size 0
		.amdhsa_wavefront_size32 1
		.amdhsa_uses_dynamic_stack 0
		.amdhsa_enable_private_segment 0
		.amdhsa_system_sgpr_workgroup_id_x 1
		.amdhsa_system_sgpr_workgroup_id_y 0
		.amdhsa_system_sgpr_workgroup_id_z 0
		.amdhsa_system_sgpr_workgroup_info 0
		.amdhsa_system_vgpr_workitem_id 0
		.amdhsa_next_free_vgpr 1
		.amdhsa_next_free_sgpr 1
		.amdhsa_reserve_vcc 0
		.amdhsa_float_round_mode_32 0
		.amdhsa_float_round_mode_16_64 0
		.amdhsa_float_denorm_mode_32 3
		.amdhsa_float_denorm_mode_16_64 3
		.amdhsa_dx10_clamp 1
		.amdhsa_ieee_mode 1
		.amdhsa_fp16_overflow 0
		.amdhsa_workgroup_processor_mode 1
		.amdhsa_memory_ordered 1
		.amdhsa_forward_progress 0
		.amdhsa_shared_vgpr_count 0
		.amdhsa_exception_fp_ieee_invalid_op 0
		.amdhsa_exception_fp_denorm_src 0
		.amdhsa_exception_fp_ieee_div_zero 0
		.amdhsa_exception_fp_ieee_overflow 0
		.amdhsa_exception_fp_ieee_underflow 0
		.amdhsa_exception_fp_ieee_inexact 0
		.amdhsa_exception_int_div_zero 0
	.end_amdhsa_kernel
	.section	.text._Z18warp_reduce_kernelI6__halfLj256ELj64EENSt9enable_ifIXntsr10test_utilsE35device_test_enabled_for_warp_size_vIXT1_EEEvE4typeEPT_S5_,"axG",@progbits,_Z18warp_reduce_kernelI6__halfLj256ELj64EENSt9enable_ifIXntsr10test_utilsE35device_test_enabled_for_warp_size_vIXT1_EEEvE4typeEPT_S5_,comdat
.Lfunc_end31:
	.size	_Z18warp_reduce_kernelI6__halfLj256ELj64EENSt9enable_ifIXntsr10test_utilsE35device_test_enabled_for_warp_size_vIXT1_EEEvE4typeEPT_S5_, .Lfunc_end31-_Z18warp_reduce_kernelI6__halfLj256ELj64EENSt9enable_ifIXntsr10test_utilsE35device_test_enabled_for_warp_size_vIXT1_EEEvE4typeEPT_S5_
                                        ; -- End function
	.section	.AMDGPU.csdata,"",@progbits
; Kernel info:
; codeLenInByte = 4
; NumSgprs: 0
; NumVgprs: 0
; ScratchSize: 0
; MemoryBound: 0
; FloatMode: 240
; IeeeMode: 1
; LDSByteSize: 0 bytes/workgroup (compile time only)
; SGPRBlocks: 0
; VGPRBlocks: 0
; NumSGPRsForWavesPerEU: 1
; NumVGPRsForWavesPerEU: 1
; Occupancy: 16
; WaveLimiterHint : 0
; COMPUTE_PGM_RSRC2:SCRATCH_EN: 0
; COMPUTE_PGM_RSRC2:USER_SGPR: 15
; COMPUTE_PGM_RSRC2:TRAP_HANDLER: 0
; COMPUTE_PGM_RSRC2:TGID_X_EN: 1
; COMPUTE_PGM_RSRC2:TGID_Y_EN: 0
; COMPUTE_PGM_RSRC2:TGID_Z_EN: 0
; COMPUTE_PGM_RSRC2:TIDIG_COMP_CNT: 0
	.section	.text._Z18warp_reduce_kernelI6__halfLj128ELj32EENSt9enable_ifIXsr10test_utilsE35device_test_enabled_for_warp_size_vIXT1_EEEvE4typeEPT_S5_,"axG",@progbits,_Z18warp_reduce_kernelI6__halfLj128ELj32EENSt9enable_ifIXsr10test_utilsE35device_test_enabled_for_warp_size_vIXT1_EEEvE4typeEPT_S5_,comdat
	.protected	_Z18warp_reduce_kernelI6__halfLj128ELj32EENSt9enable_ifIXsr10test_utilsE35device_test_enabled_for_warp_size_vIXT1_EEEvE4typeEPT_S5_ ; -- Begin function _Z18warp_reduce_kernelI6__halfLj128ELj32EENSt9enable_ifIXsr10test_utilsE35device_test_enabled_for_warp_size_vIXT1_EEEvE4typeEPT_S5_
	.globl	_Z18warp_reduce_kernelI6__halfLj128ELj32EENSt9enable_ifIXsr10test_utilsE35device_test_enabled_for_warp_size_vIXT1_EEEvE4typeEPT_S5_
	.p2align	8
	.type	_Z18warp_reduce_kernelI6__halfLj128ELj32EENSt9enable_ifIXsr10test_utilsE35device_test_enabled_for_warp_size_vIXT1_EEEvE4typeEPT_S5_,@function
_Z18warp_reduce_kernelI6__halfLj128ELj32EENSt9enable_ifIXsr10test_utilsE35device_test_enabled_for_warp_size_vIXT1_EEEvE4typeEPT_S5_: ; @_Z18warp_reduce_kernelI6__halfLj128ELj32EENSt9enable_ifIXsr10test_utilsE35device_test_enabled_for_warp_size_vIXT1_EEEvE4typeEPT_S5_
; %bb.0:
	s_clause 0x1
	s_load_b32 s4, s[0:1], 0x1c
	s_load_b128 s[0:3], s[0:1], 0x0
	s_waitcnt lgkmcnt(0)
	s_and_b32 s4, s4, 0xffff
	s_delay_alu instid0(SALU_CYCLE_1) | instskip(SKIP_2) | instid1(VALU_DEP_2)
	v_mad_u64_u32 v[1:2], null, s15, s4, v[0:1]
	v_mov_b32_e32 v2, 0
	v_and_b32_e32 v0, 31, v0
	v_lshlrev_b64 v[3:4], 1, v[1:2]
	s_delay_alu instid0(VALU_DEP_1) | instskip(NEXT) | instid1(VALU_DEP_2)
	v_add_co_u32 v3, vcc_lo, s0, v3
	v_add_co_ci_u32_e32 v4, vcc_lo, s1, v4, vcc_lo
	s_mov_b32 s0, exec_lo
	global_load_u16 v3, v[3:4], off
	s_waitcnt vmcnt(0)
	v_and_b32_e32 v4, 0xffff, v3
	s_delay_alu instid0(VALU_DEP_1) | instskip(NEXT) | instid1(VALU_DEP_1)
	v_mov_b32_dpp v4, v4 quad_perm:[1,0,3,2] row_mask:0xf bank_mask:0xf
	v_add_f16_e32 v3, v3, v4
	s_delay_alu instid0(VALU_DEP_1) | instskip(NEXT) | instid1(VALU_DEP_1)
	v_and_b32_e32 v4, 0xffff, v3
	v_mov_b32_dpp v4, v4 quad_perm:[2,3,0,1] row_mask:0xf bank_mask:0xf
	s_delay_alu instid0(VALU_DEP_1) | instskip(NEXT) | instid1(VALU_DEP_1)
	v_add_f16_e32 v3, v3, v4
	v_and_b32_e32 v4, 0xffff, v3
	s_delay_alu instid0(VALU_DEP_1) | instskip(NEXT) | instid1(VALU_DEP_1)
	v_mov_b32_dpp v4, v4 row_ror:4 row_mask:0xf bank_mask:0xf
	v_add_f16_e32 v3, v3, v4
	s_delay_alu instid0(VALU_DEP_1) | instskip(NEXT) | instid1(VALU_DEP_1)
	v_and_b32_e32 v4, 0xffff, v3
	v_mov_b32_dpp v4, v4 row_ror:8 row_mask:0xf bank_mask:0xf
	s_delay_alu instid0(VALU_DEP_1) | instskip(NEXT) | instid1(VALU_DEP_1)
	v_add_f16_e32 v3, v3, v4
	v_and_b32_e32 v4, 0xffff, v3
	ds_swizzle_b32 v4, v4 offset:swizzle(BROADCAST,32,15)
	s_waitcnt lgkmcnt(0)
	v_add_f16_e32 v3, v3, v4
	s_delay_alu instid0(VALU_DEP_1)
	v_and_b32_e32 v3, 0xffff, v3
	ds_bpermute_b32 v2, v2, v3 offset:124
	v_cmpx_eq_u32_e32 0, v0
	s_cbranch_execz .LBB32_2
; %bb.1:
	v_lshrrev_b32_e32 v0, 4, v1
	s_delay_alu instid0(VALU_DEP_1)
	v_and_b32_e32 v0, 0xffffffe, v0
	s_waitcnt lgkmcnt(0)
	global_store_b16 v0, v2, s[2:3]
.LBB32_2:
	s_nop 0
	s_sendmsg sendmsg(MSG_DEALLOC_VGPRS)
	s_endpgm
	.section	.rodata,"a",@progbits
	.p2align	6, 0x0
	.amdhsa_kernel _Z18warp_reduce_kernelI6__halfLj128ELj32EENSt9enable_ifIXsr10test_utilsE35device_test_enabled_for_warp_size_vIXT1_EEEvE4typeEPT_S5_
		.amdhsa_group_segment_fixed_size 0
		.amdhsa_private_segment_fixed_size 0
		.amdhsa_kernarg_size 272
		.amdhsa_user_sgpr_count 15
		.amdhsa_user_sgpr_dispatch_ptr 0
		.amdhsa_user_sgpr_queue_ptr 0
		.amdhsa_user_sgpr_kernarg_segment_ptr 1
		.amdhsa_user_sgpr_dispatch_id 0
		.amdhsa_user_sgpr_private_segment_size 0
		.amdhsa_wavefront_size32 1
		.amdhsa_uses_dynamic_stack 0
		.amdhsa_enable_private_segment 0
		.amdhsa_system_sgpr_workgroup_id_x 1
		.amdhsa_system_sgpr_workgroup_id_y 0
		.amdhsa_system_sgpr_workgroup_id_z 0
		.amdhsa_system_sgpr_workgroup_info 0
		.amdhsa_system_vgpr_workitem_id 0
		.amdhsa_next_free_vgpr 5
		.amdhsa_next_free_sgpr 16
		.amdhsa_reserve_vcc 1
		.amdhsa_float_round_mode_32 0
		.amdhsa_float_round_mode_16_64 0
		.amdhsa_float_denorm_mode_32 3
		.amdhsa_float_denorm_mode_16_64 3
		.amdhsa_dx10_clamp 1
		.amdhsa_ieee_mode 1
		.amdhsa_fp16_overflow 0
		.amdhsa_workgroup_processor_mode 1
		.amdhsa_memory_ordered 1
		.amdhsa_forward_progress 0
		.amdhsa_shared_vgpr_count 0
		.amdhsa_exception_fp_ieee_invalid_op 0
		.amdhsa_exception_fp_denorm_src 0
		.amdhsa_exception_fp_ieee_div_zero 0
		.amdhsa_exception_fp_ieee_overflow 0
		.amdhsa_exception_fp_ieee_underflow 0
		.amdhsa_exception_fp_ieee_inexact 0
		.amdhsa_exception_int_div_zero 0
	.end_amdhsa_kernel
	.section	.text._Z18warp_reduce_kernelI6__halfLj128ELj32EENSt9enable_ifIXsr10test_utilsE35device_test_enabled_for_warp_size_vIXT1_EEEvE4typeEPT_S5_,"axG",@progbits,_Z18warp_reduce_kernelI6__halfLj128ELj32EENSt9enable_ifIXsr10test_utilsE35device_test_enabled_for_warp_size_vIXT1_EEEvE4typeEPT_S5_,comdat
.Lfunc_end32:
	.size	_Z18warp_reduce_kernelI6__halfLj128ELj32EENSt9enable_ifIXsr10test_utilsE35device_test_enabled_for_warp_size_vIXT1_EEEvE4typeEPT_S5_, .Lfunc_end32-_Z18warp_reduce_kernelI6__halfLj128ELj32EENSt9enable_ifIXsr10test_utilsE35device_test_enabled_for_warp_size_vIXT1_EEEvE4typeEPT_S5_
                                        ; -- End function
	.section	.AMDGPU.csdata,"",@progbits
; Kernel info:
; codeLenInByte = 288
; NumSgprs: 18
; NumVgprs: 5
; ScratchSize: 0
; MemoryBound: 0
; FloatMode: 240
; IeeeMode: 1
; LDSByteSize: 0 bytes/workgroup (compile time only)
; SGPRBlocks: 2
; VGPRBlocks: 0
; NumSGPRsForWavesPerEU: 18
; NumVGPRsForWavesPerEU: 5
; Occupancy: 16
; WaveLimiterHint : 0
; COMPUTE_PGM_RSRC2:SCRATCH_EN: 0
; COMPUTE_PGM_RSRC2:USER_SGPR: 15
; COMPUTE_PGM_RSRC2:TRAP_HANDLER: 0
; COMPUTE_PGM_RSRC2:TGID_X_EN: 1
; COMPUTE_PGM_RSRC2:TGID_Y_EN: 0
; COMPUTE_PGM_RSRC2:TGID_Z_EN: 0
; COMPUTE_PGM_RSRC2:TIDIG_COMP_CNT: 0
	.section	.text._Z18warp_reduce_kernelI6__halfLj64ELj16EENSt9enable_ifIXsr10test_utilsE35device_test_enabled_for_warp_size_vIXT1_EEEvE4typeEPT_S5_,"axG",@progbits,_Z18warp_reduce_kernelI6__halfLj64ELj16EENSt9enable_ifIXsr10test_utilsE35device_test_enabled_for_warp_size_vIXT1_EEEvE4typeEPT_S5_,comdat
	.protected	_Z18warp_reduce_kernelI6__halfLj64ELj16EENSt9enable_ifIXsr10test_utilsE35device_test_enabled_for_warp_size_vIXT1_EEEvE4typeEPT_S5_ ; -- Begin function _Z18warp_reduce_kernelI6__halfLj64ELj16EENSt9enable_ifIXsr10test_utilsE35device_test_enabled_for_warp_size_vIXT1_EEEvE4typeEPT_S5_
	.globl	_Z18warp_reduce_kernelI6__halfLj64ELj16EENSt9enable_ifIXsr10test_utilsE35device_test_enabled_for_warp_size_vIXT1_EEEvE4typeEPT_S5_
	.p2align	8
	.type	_Z18warp_reduce_kernelI6__halfLj64ELj16EENSt9enable_ifIXsr10test_utilsE35device_test_enabled_for_warp_size_vIXT1_EEEvE4typeEPT_S5_,@function
_Z18warp_reduce_kernelI6__halfLj64ELj16EENSt9enable_ifIXsr10test_utilsE35device_test_enabled_for_warp_size_vIXT1_EEEvE4typeEPT_S5_: ; @_Z18warp_reduce_kernelI6__halfLj64ELj16EENSt9enable_ifIXsr10test_utilsE35device_test_enabled_for_warp_size_vIXT1_EEEvE4typeEPT_S5_
; %bb.0:
	s_clause 0x1
	s_load_b32 s4, s[0:1], 0x1c
	s_load_b128 s[0:3], s[0:1], 0x0
	s_waitcnt lgkmcnt(0)
	s_and_b32 s4, s4, 0xffff
	s_delay_alu instid0(SALU_CYCLE_1) | instskip(SKIP_2) | instid1(VALU_DEP_2)
	v_mad_u64_u32 v[1:2], null, s15, s4, v[0:1]
	v_mov_b32_e32 v2, 0
	v_and_b32_e32 v0, 15, v0
	v_lshlrev_b64 v[2:3], 1, v[1:2]
	s_delay_alu instid0(VALU_DEP_1) | instskip(NEXT) | instid1(VALU_DEP_2)
	v_add_co_u32 v2, vcc_lo, s0, v2
	v_add_co_ci_u32_e32 v3, vcc_lo, s1, v3, vcc_lo
	s_mov_b32 s0, exec_lo
	global_load_u16 v2, v[2:3], off
	v_mbcnt_lo_u32_b32 v3, -1, 0
	s_delay_alu instid0(VALU_DEP_1) | instskip(NEXT) | instid1(VALU_DEP_1)
	v_and_b32_e32 v4, 15, v3
	v_cmp_ne_u32_e32 vcc_lo, 15, v4
	v_add_co_ci_u32_e32 v5, vcc_lo, 0, v3, vcc_lo
	v_cmp_gt_u32_e32 vcc_lo, 14, v4
	s_delay_alu instid0(VALU_DEP_2)
	v_lshlrev_b32_e32 v5, 2, v5
	s_waitcnt vmcnt(0)
	v_and_b32_e32 v6, 0xffff, v2
	ds_bpermute_b32 v5, v5, v6
	v_cndmask_b32_e64 v6, 0, 1, vcc_lo
	v_cmp_gt_u32_e32 vcc_lo, 12, v4
	s_delay_alu instid0(VALU_DEP_2) | instskip(SKIP_2) | instid1(VALU_DEP_2)
	v_lshlrev_b32_e32 v6, 1, v6
	s_waitcnt lgkmcnt(0)
	v_add_f16_e32 v2, v2, v5
	v_add_lshl_u32 v5, v6, v3, 2
	s_delay_alu instid0(VALU_DEP_2) | instskip(SKIP_3) | instid1(VALU_DEP_2)
	v_and_b32_e32 v6, 0xffff, v2
	ds_bpermute_b32 v5, v5, v6
	v_cndmask_b32_e64 v6, 0, 1, vcc_lo
	v_cmp_gt_u32_e32 vcc_lo, 8, v4
	v_lshlrev_b32_e32 v6, 2, v6
	v_cndmask_b32_e64 v4, 0, 1, vcc_lo
	s_delay_alu instid0(VALU_DEP_1) | instskip(SKIP_3) | instid1(VALU_DEP_3)
	v_lshlrev_b32_e32 v4, 3, v4
	s_waitcnt lgkmcnt(0)
	v_add_f16_e32 v2, v2, v5
	v_add_lshl_u32 v5, v6, v3, 2
	v_add_lshl_u32 v3, v4, v3, 2
	s_delay_alu instid0(VALU_DEP_3) | instskip(SKIP_3) | instid1(VALU_DEP_1)
	v_and_b32_e32 v6, 0xffff, v2
	ds_bpermute_b32 v5, v5, v6
	s_waitcnt lgkmcnt(0)
	v_add_f16_e32 v2, v2, v5
	v_and_b32_e32 v5, 0xffff, v2
	ds_bpermute_b32 v3, v3, v5
	v_cmpx_eq_u32_e32 0, v0
	s_cbranch_execz .LBB33_2
; %bb.1:
	v_lshrrev_b32_e32 v0, 3, v1
	s_waitcnt lgkmcnt(0)
	v_add_f16_e32 v1, v2, v3
	s_delay_alu instid0(VALU_DEP_2)
	v_and_b32_e32 v0, 0x1ffffffe, v0
	global_store_b16 v0, v1, s[2:3]
.LBB33_2:
	s_nop 0
	s_sendmsg sendmsg(MSG_DEALLOC_VGPRS)
	s_endpgm
	.section	.rodata,"a",@progbits
	.p2align	6, 0x0
	.amdhsa_kernel _Z18warp_reduce_kernelI6__halfLj64ELj16EENSt9enable_ifIXsr10test_utilsE35device_test_enabled_for_warp_size_vIXT1_EEEvE4typeEPT_S5_
		.amdhsa_group_segment_fixed_size 0
		.amdhsa_private_segment_fixed_size 0
		.amdhsa_kernarg_size 272
		.amdhsa_user_sgpr_count 15
		.amdhsa_user_sgpr_dispatch_ptr 0
		.amdhsa_user_sgpr_queue_ptr 0
		.amdhsa_user_sgpr_kernarg_segment_ptr 1
		.amdhsa_user_sgpr_dispatch_id 0
		.amdhsa_user_sgpr_private_segment_size 0
		.amdhsa_wavefront_size32 1
		.amdhsa_uses_dynamic_stack 0
		.amdhsa_enable_private_segment 0
		.amdhsa_system_sgpr_workgroup_id_x 1
		.amdhsa_system_sgpr_workgroup_id_y 0
		.amdhsa_system_sgpr_workgroup_id_z 0
		.amdhsa_system_sgpr_workgroup_info 0
		.amdhsa_system_vgpr_workitem_id 0
		.amdhsa_next_free_vgpr 7
		.amdhsa_next_free_sgpr 16
		.amdhsa_reserve_vcc 1
		.amdhsa_float_round_mode_32 0
		.amdhsa_float_round_mode_16_64 0
		.amdhsa_float_denorm_mode_32 3
		.amdhsa_float_denorm_mode_16_64 3
		.amdhsa_dx10_clamp 1
		.amdhsa_ieee_mode 1
		.amdhsa_fp16_overflow 0
		.amdhsa_workgroup_processor_mode 1
		.amdhsa_memory_ordered 1
		.amdhsa_forward_progress 0
		.amdhsa_shared_vgpr_count 0
		.amdhsa_exception_fp_ieee_invalid_op 0
		.amdhsa_exception_fp_denorm_src 0
		.amdhsa_exception_fp_ieee_div_zero 0
		.amdhsa_exception_fp_ieee_overflow 0
		.amdhsa_exception_fp_ieee_underflow 0
		.amdhsa_exception_fp_ieee_inexact 0
		.amdhsa_exception_int_div_zero 0
	.end_amdhsa_kernel
	.section	.text._Z18warp_reduce_kernelI6__halfLj64ELj16EENSt9enable_ifIXsr10test_utilsE35device_test_enabled_for_warp_size_vIXT1_EEEvE4typeEPT_S5_,"axG",@progbits,_Z18warp_reduce_kernelI6__halfLj64ELj16EENSt9enable_ifIXsr10test_utilsE35device_test_enabled_for_warp_size_vIXT1_EEEvE4typeEPT_S5_,comdat
.Lfunc_end33:
	.size	_Z18warp_reduce_kernelI6__halfLj64ELj16EENSt9enable_ifIXsr10test_utilsE35device_test_enabled_for_warp_size_vIXT1_EEEvE4typeEPT_S5_, .Lfunc_end33-_Z18warp_reduce_kernelI6__halfLj64ELj16EENSt9enable_ifIXsr10test_utilsE35device_test_enabled_for_warp_size_vIXT1_EEEvE4typeEPT_S5_
                                        ; -- End function
	.section	.AMDGPU.csdata,"",@progbits
; Kernel info:
; codeLenInByte = 352
; NumSgprs: 18
; NumVgprs: 7
; ScratchSize: 0
; MemoryBound: 0
; FloatMode: 240
; IeeeMode: 1
; LDSByteSize: 0 bytes/workgroup (compile time only)
; SGPRBlocks: 2
; VGPRBlocks: 0
; NumSGPRsForWavesPerEU: 18
; NumVGPRsForWavesPerEU: 7
; Occupancy: 16
; WaveLimiterHint : 0
; COMPUTE_PGM_RSRC2:SCRATCH_EN: 0
; COMPUTE_PGM_RSRC2:USER_SGPR: 15
; COMPUTE_PGM_RSRC2:TRAP_HANDLER: 0
; COMPUTE_PGM_RSRC2:TGID_X_EN: 1
; COMPUTE_PGM_RSRC2:TGID_Y_EN: 0
; COMPUTE_PGM_RSRC2:TGID_Z_EN: 0
; COMPUTE_PGM_RSRC2:TIDIG_COMP_CNT: 0
	.section	.text._Z18warp_reduce_kernelI6__halfLj32ELj8EENSt9enable_ifIXsr10test_utilsE35device_test_enabled_for_warp_size_vIXT1_EEEvE4typeEPT_S5_,"axG",@progbits,_Z18warp_reduce_kernelI6__halfLj32ELj8EENSt9enable_ifIXsr10test_utilsE35device_test_enabled_for_warp_size_vIXT1_EEEvE4typeEPT_S5_,comdat
	.protected	_Z18warp_reduce_kernelI6__halfLj32ELj8EENSt9enable_ifIXsr10test_utilsE35device_test_enabled_for_warp_size_vIXT1_EEEvE4typeEPT_S5_ ; -- Begin function _Z18warp_reduce_kernelI6__halfLj32ELj8EENSt9enable_ifIXsr10test_utilsE35device_test_enabled_for_warp_size_vIXT1_EEEvE4typeEPT_S5_
	.globl	_Z18warp_reduce_kernelI6__halfLj32ELj8EENSt9enable_ifIXsr10test_utilsE35device_test_enabled_for_warp_size_vIXT1_EEEvE4typeEPT_S5_
	.p2align	8
	.type	_Z18warp_reduce_kernelI6__halfLj32ELj8EENSt9enable_ifIXsr10test_utilsE35device_test_enabled_for_warp_size_vIXT1_EEEvE4typeEPT_S5_,@function
_Z18warp_reduce_kernelI6__halfLj32ELj8EENSt9enable_ifIXsr10test_utilsE35device_test_enabled_for_warp_size_vIXT1_EEEvE4typeEPT_S5_: ; @_Z18warp_reduce_kernelI6__halfLj32ELj8EENSt9enable_ifIXsr10test_utilsE35device_test_enabled_for_warp_size_vIXT1_EEEvE4typeEPT_S5_
; %bb.0:
	s_clause 0x1
	s_load_b32 s4, s[0:1], 0x1c
	s_load_b128 s[0:3], s[0:1], 0x0
	s_waitcnt lgkmcnt(0)
	s_and_b32 s4, s4, 0xffff
	s_delay_alu instid0(SALU_CYCLE_1) | instskip(SKIP_2) | instid1(VALU_DEP_2)
	v_mad_u64_u32 v[1:2], null, s15, s4, v[0:1]
	v_mov_b32_e32 v2, 0
	v_and_b32_e32 v0, 7, v0
	v_lshlrev_b64 v[2:3], 1, v[1:2]
	s_delay_alu instid0(VALU_DEP_1) | instskip(NEXT) | instid1(VALU_DEP_2)
	v_add_co_u32 v2, vcc_lo, s0, v2
	v_add_co_ci_u32_e32 v3, vcc_lo, s1, v3, vcc_lo
	s_mov_b32 s0, exec_lo
	global_load_u16 v2, v[2:3], off
	v_mbcnt_lo_u32_b32 v3, -1, 0
	s_delay_alu instid0(VALU_DEP_1) | instskip(NEXT) | instid1(VALU_DEP_1)
	v_and_b32_e32 v4, 7, v3
	v_cmp_ne_u32_e32 vcc_lo, 7, v4
	v_add_co_ci_u32_e32 v5, vcc_lo, 0, v3, vcc_lo
	v_cmp_gt_u32_e32 vcc_lo, 6, v4
	s_delay_alu instid0(VALU_DEP_2)
	v_lshlrev_b32_e32 v5, 2, v5
	s_waitcnt vmcnt(0)
	v_and_b32_e32 v6, 0xffff, v2
	ds_bpermute_b32 v5, v5, v6
	v_cndmask_b32_e64 v6, 0, 1, vcc_lo
	v_cmp_gt_u32_e32 vcc_lo, 4, v4
	s_delay_alu instid0(VALU_DEP_2) | instskip(SKIP_1) | instid1(VALU_DEP_1)
	v_lshlrev_b32_e32 v6, 1, v6
	v_cndmask_b32_e64 v4, 0, 1, vcc_lo
	v_lshlrev_b32_e32 v4, 2, v4
	s_waitcnt lgkmcnt(0)
	v_add_f16_e32 v2, v2, v5
	v_add_lshl_u32 v5, v6, v3, 2
	s_delay_alu instid0(VALU_DEP_3) | instskip(NEXT) | instid1(VALU_DEP_3)
	v_add_lshl_u32 v3, v4, v3, 2
	v_and_b32_e32 v6, 0xffff, v2
	ds_bpermute_b32 v5, v5, v6
	s_waitcnt lgkmcnt(0)
	v_add_f16_e32 v2, v2, v5
	s_delay_alu instid0(VALU_DEP_1)
	v_and_b32_e32 v5, 0xffff, v2
	ds_bpermute_b32 v3, v3, v5
	v_cmpx_eq_u32_e32 0, v0
	s_cbranch_execz .LBB34_2
; %bb.1:
	v_lshrrev_b32_e32 v0, 2, v1
	s_waitcnt lgkmcnt(0)
	v_add_f16_e32 v1, v2, v3
	s_delay_alu instid0(VALU_DEP_2)
	v_and_b32_e32 v0, 0x3ffffffe, v0
	global_store_b16 v0, v1, s[2:3]
.LBB34_2:
	s_nop 0
	s_sendmsg sendmsg(MSG_DEALLOC_VGPRS)
	s_endpgm
	.section	.rodata,"a",@progbits
	.p2align	6, 0x0
	.amdhsa_kernel _Z18warp_reduce_kernelI6__halfLj32ELj8EENSt9enable_ifIXsr10test_utilsE35device_test_enabled_for_warp_size_vIXT1_EEEvE4typeEPT_S5_
		.amdhsa_group_segment_fixed_size 0
		.amdhsa_private_segment_fixed_size 0
		.amdhsa_kernarg_size 272
		.amdhsa_user_sgpr_count 15
		.amdhsa_user_sgpr_dispatch_ptr 0
		.amdhsa_user_sgpr_queue_ptr 0
		.amdhsa_user_sgpr_kernarg_segment_ptr 1
		.amdhsa_user_sgpr_dispatch_id 0
		.amdhsa_user_sgpr_private_segment_size 0
		.amdhsa_wavefront_size32 1
		.amdhsa_uses_dynamic_stack 0
		.amdhsa_enable_private_segment 0
		.amdhsa_system_sgpr_workgroup_id_x 1
		.amdhsa_system_sgpr_workgroup_id_y 0
		.amdhsa_system_sgpr_workgroup_id_z 0
		.amdhsa_system_sgpr_workgroup_info 0
		.amdhsa_system_vgpr_workitem_id 0
		.amdhsa_next_free_vgpr 7
		.amdhsa_next_free_sgpr 16
		.amdhsa_reserve_vcc 1
		.amdhsa_float_round_mode_32 0
		.amdhsa_float_round_mode_16_64 0
		.amdhsa_float_denorm_mode_32 3
		.amdhsa_float_denorm_mode_16_64 3
		.amdhsa_dx10_clamp 1
		.amdhsa_ieee_mode 1
		.amdhsa_fp16_overflow 0
		.amdhsa_workgroup_processor_mode 1
		.amdhsa_memory_ordered 1
		.amdhsa_forward_progress 0
		.amdhsa_shared_vgpr_count 0
		.amdhsa_exception_fp_ieee_invalid_op 0
		.amdhsa_exception_fp_denorm_src 0
		.amdhsa_exception_fp_ieee_div_zero 0
		.amdhsa_exception_fp_ieee_overflow 0
		.amdhsa_exception_fp_ieee_underflow 0
		.amdhsa_exception_fp_ieee_inexact 0
		.amdhsa_exception_int_div_zero 0
	.end_amdhsa_kernel
	.section	.text._Z18warp_reduce_kernelI6__halfLj32ELj8EENSt9enable_ifIXsr10test_utilsE35device_test_enabled_for_warp_size_vIXT1_EEEvE4typeEPT_S5_,"axG",@progbits,_Z18warp_reduce_kernelI6__halfLj32ELj8EENSt9enable_ifIXsr10test_utilsE35device_test_enabled_for_warp_size_vIXT1_EEEvE4typeEPT_S5_,comdat
.Lfunc_end34:
	.size	_Z18warp_reduce_kernelI6__halfLj32ELj8EENSt9enable_ifIXsr10test_utilsE35device_test_enabled_for_warp_size_vIXT1_EEEvE4typeEPT_S5_, .Lfunc_end34-_Z18warp_reduce_kernelI6__halfLj32ELj8EENSt9enable_ifIXsr10test_utilsE35device_test_enabled_for_warp_size_vIXT1_EEEvE4typeEPT_S5_
                                        ; -- End function
	.section	.AMDGPU.csdata,"",@progbits
; Kernel info:
; codeLenInByte = 300
; NumSgprs: 18
; NumVgprs: 7
; ScratchSize: 0
; MemoryBound: 0
; FloatMode: 240
; IeeeMode: 1
; LDSByteSize: 0 bytes/workgroup (compile time only)
; SGPRBlocks: 2
; VGPRBlocks: 0
; NumSGPRsForWavesPerEU: 18
; NumVGPRsForWavesPerEU: 7
; Occupancy: 16
; WaveLimiterHint : 0
; COMPUTE_PGM_RSRC2:SCRATCH_EN: 0
; COMPUTE_PGM_RSRC2:USER_SGPR: 15
; COMPUTE_PGM_RSRC2:TRAP_HANDLER: 0
; COMPUTE_PGM_RSRC2:TGID_X_EN: 1
; COMPUTE_PGM_RSRC2:TGID_Y_EN: 0
; COMPUTE_PGM_RSRC2:TGID_Z_EN: 0
; COMPUTE_PGM_RSRC2:TIDIG_COMP_CNT: 0
	.section	.text._Z18warp_reduce_kernelI6__halfLj64ELj8EENSt9enable_ifIXsr10test_utilsE35device_test_enabled_for_warp_size_vIXT1_EEEvE4typeEPT_S5_,"axG",@progbits,_Z18warp_reduce_kernelI6__halfLj64ELj8EENSt9enable_ifIXsr10test_utilsE35device_test_enabled_for_warp_size_vIXT1_EEEvE4typeEPT_S5_,comdat
	.protected	_Z18warp_reduce_kernelI6__halfLj64ELj8EENSt9enable_ifIXsr10test_utilsE35device_test_enabled_for_warp_size_vIXT1_EEEvE4typeEPT_S5_ ; -- Begin function _Z18warp_reduce_kernelI6__halfLj64ELj8EENSt9enable_ifIXsr10test_utilsE35device_test_enabled_for_warp_size_vIXT1_EEEvE4typeEPT_S5_
	.globl	_Z18warp_reduce_kernelI6__halfLj64ELj8EENSt9enable_ifIXsr10test_utilsE35device_test_enabled_for_warp_size_vIXT1_EEEvE4typeEPT_S5_
	.p2align	8
	.type	_Z18warp_reduce_kernelI6__halfLj64ELj8EENSt9enable_ifIXsr10test_utilsE35device_test_enabled_for_warp_size_vIXT1_EEEvE4typeEPT_S5_,@function
_Z18warp_reduce_kernelI6__halfLj64ELj8EENSt9enable_ifIXsr10test_utilsE35device_test_enabled_for_warp_size_vIXT1_EEEvE4typeEPT_S5_: ; @_Z18warp_reduce_kernelI6__halfLj64ELj8EENSt9enable_ifIXsr10test_utilsE35device_test_enabled_for_warp_size_vIXT1_EEEvE4typeEPT_S5_
; %bb.0:
	s_clause 0x1
	s_load_b32 s4, s[0:1], 0x1c
	s_load_b128 s[0:3], s[0:1], 0x0
	s_waitcnt lgkmcnt(0)
	s_and_b32 s4, s4, 0xffff
	s_delay_alu instid0(SALU_CYCLE_1) | instskip(SKIP_2) | instid1(VALU_DEP_2)
	v_mad_u64_u32 v[1:2], null, s15, s4, v[0:1]
	v_mov_b32_e32 v2, 0
	v_and_b32_e32 v0, 7, v0
	v_lshlrev_b64 v[2:3], 1, v[1:2]
	s_delay_alu instid0(VALU_DEP_1) | instskip(NEXT) | instid1(VALU_DEP_2)
	v_add_co_u32 v2, vcc_lo, s0, v2
	v_add_co_ci_u32_e32 v3, vcc_lo, s1, v3, vcc_lo
	s_mov_b32 s0, exec_lo
	global_load_u16 v2, v[2:3], off
	v_mbcnt_lo_u32_b32 v3, -1, 0
	s_delay_alu instid0(VALU_DEP_1) | instskip(NEXT) | instid1(VALU_DEP_1)
	v_and_b32_e32 v4, 7, v3
	v_cmp_ne_u32_e32 vcc_lo, 7, v4
	v_add_co_ci_u32_e32 v5, vcc_lo, 0, v3, vcc_lo
	v_cmp_gt_u32_e32 vcc_lo, 6, v4
	s_delay_alu instid0(VALU_DEP_2)
	v_lshlrev_b32_e32 v5, 2, v5
	s_waitcnt vmcnt(0)
	v_and_b32_e32 v6, 0xffff, v2
	ds_bpermute_b32 v5, v5, v6
	v_cndmask_b32_e64 v6, 0, 1, vcc_lo
	v_cmp_gt_u32_e32 vcc_lo, 4, v4
	s_delay_alu instid0(VALU_DEP_2) | instskip(SKIP_1) | instid1(VALU_DEP_1)
	v_lshlrev_b32_e32 v6, 1, v6
	v_cndmask_b32_e64 v4, 0, 1, vcc_lo
	v_lshlrev_b32_e32 v4, 2, v4
	s_waitcnt lgkmcnt(0)
	v_add_f16_e32 v2, v2, v5
	v_add_lshl_u32 v5, v6, v3, 2
	s_delay_alu instid0(VALU_DEP_3) | instskip(NEXT) | instid1(VALU_DEP_3)
	v_add_lshl_u32 v3, v4, v3, 2
	v_and_b32_e32 v6, 0xffff, v2
	ds_bpermute_b32 v5, v5, v6
	s_waitcnt lgkmcnt(0)
	v_add_f16_e32 v2, v2, v5
	s_delay_alu instid0(VALU_DEP_1)
	v_and_b32_e32 v5, 0xffff, v2
	ds_bpermute_b32 v3, v3, v5
	v_cmpx_eq_u32_e32 0, v0
	s_cbranch_execz .LBB35_2
; %bb.1:
	v_lshrrev_b32_e32 v0, 2, v1
	s_waitcnt lgkmcnt(0)
	v_add_f16_e32 v1, v2, v3
	s_delay_alu instid0(VALU_DEP_2)
	v_and_b32_e32 v0, 0x3ffffffe, v0
	global_store_b16 v0, v1, s[2:3]
.LBB35_2:
	s_nop 0
	s_sendmsg sendmsg(MSG_DEALLOC_VGPRS)
	s_endpgm
	.section	.rodata,"a",@progbits
	.p2align	6, 0x0
	.amdhsa_kernel _Z18warp_reduce_kernelI6__halfLj64ELj8EENSt9enable_ifIXsr10test_utilsE35device_test_enabled_for_warp_size_vIXT1_EEEvE4typeEPT_S5_
		.amdhsa_group_segment_fixed_size 0
		.amdhsa_private_segment_fixed_size 0
		.amdhsa_kernarg_size 272
		.amdhsa_user_sgpr_count 15
		.amdhsa_user_sgpr_dispatch_ptr 0
		.amdhsa_user_sgpr_queue_ptr 0
		.amdhsa_user_sgpr_kernarg_segment_ptr 1
		.amdhsa_user_sgpr_dispatch_id 0
		.amdhsa_user_sgpr_private_segment_size 0
		.amdhsa_wavefront_size32 1
		.amdhsa_uses_dynamic_stack 0
		.amdhsa_enable_private_segment 0
		.amdhsa_system_sgpr_workgroup_id_x 1
		.amdhsa_system_sgpr_workgroup_id_y 0
		.amdhsa_system_sgpr_workgroup_id_z 0
		.amdhsa_system_sgpr_workgroup_info 0
		.amdhsa_system_vgpr_workitem_id 0
		.amdhsa_next_free_vgpr 7
		.amdhsa_next_free_sgpr 16
		.amdhsa_reserve_vcc 1
		.amdhsa_float_round_mode_32 0
		.amdhsa_float_round_mode_16_64 0
		.amdhsa_float_denorm_mode_32 3
		.amdhsa_float_denorm_mode_16_64 3
		.amdhsa_dx10_clamp 1
		.amdhsa_ieee_mode 1
		.amdhsa_fp16_overflow 0
		.amdhsa_workgroup_processor_mode 1
		.amdhsa_memory_ordered 1
		.amdhsa_forward_progress 0
		.amdhsa_shared_vgpr_count 0
		.amdhsa_exception_fp_ieee_invalid_op 0
		.amdhsa_exception_fp_denorm_src 0
		.amdhsa_exception_fp_ieee_div_zero 0
		.amdhsa_exception_fp_ieee_overflow 0
		.amdhsa_exception_fp_ieee_underflow 0
		.amdhsa_exception_fp_ieee_inexact 0
		.amdhsa_exception_int_div_zero 0
	.end_amdhsa_kernel
	.section	.text._Z18warp_reduce_kernelI6__halfLj64ELj8EENSt9enable_ifIXsr10test_utilsE35device_test_enabled_for_warp_size_vIXT1_EEEvE4typeEPT_S5_,"axG",@progbits,_Z18warp_reduce_kernelI6__halfLj64ELj8EENSt9enable_ifIXsr10test_utilsE35device_test_enabled_for_warp_size_vIXT1_EEEvE4typeEPT_S5_,comdat
.Lfunc_end35:
	.size	_Z18warp_reduce_kernelI6__halfLj64ELj8EENSt9enable_ifIXsr10test_utilsE35device_test_enabled_for_warp_size_vIXT1_EEEvE4typeEPT_S5_, .Lfunc_end35-_Z18warp_reduce_kernelI6__halfLj64ELj8EENSt9enable_ifIXsr10test_utilsE35device_test_enabled_for_warp_size_vIXT1_EEEvE4typeEPT_S5_
                                        ; -- End function
	.section	.AMDGPU.csdata,"",@progbits
; Kernel info:
; codeLenInByte = 300
; NumSgprs: 18
; NumVgprs: 7
; ScratchSize: 0
; MemoryBound: 0
; FloatMode: 240
; IeeeMode: 1
; LDSByteSize: 0 bytes/workgroup (compile time only)
; SGPRBlocks: 2
; VGPRBlocks: 0
; NumSGPRsForWavesPerEU: 18
; NumVGPRsForWavesPerEU: 7
; Occupancy: 16
; WaveLimiterHint : 0
; COMPUTE_PGM_RSRC2:SCRATCH_EN: 0
; COMPUTE_PGM_RSRC2:USER_SGPR: 15
; COMPUTE_PGM_RSRC2:TRAP_HANDLER: 0
; COMPUTE_PGM_RSRC2:TGID_X_EN: 1
; COMPUTE_PGM_RSRC2:TGID_Y_EN: 0
; COMPUTE_PGM_RSRC2:TGID_Z_EN: 0
; COMPUTE_PGM_RSRC2:TIDIG_COMP_CNT: 0
	.section	.text._Z18warp_reduce_kernelI6__halfLj32ELj4EENSt9enable_ifIXsr10test_utilsE35device_test_enabled_for_warp_size_vIXT1_EEEvE4typeEPT_S5_,"axG",@progbits,_Z18warp_reduce_kernelI6__halfLj32ELj4EENSt9enable_ifIXsr10test_utilsE35device_test_enabled_for_warp_size_vIXT1_EEEvE4typeEPT_S5_,comdat
	.protected	_Z18warp_reduce_kernelI6__halfLj32ELj4EENSt9enable_ifIXsr10test_utilsE35device_test_enabled_for_warp_size_vIXT1_EEEvE4typeEPT_S5_ ; -- Begin function _Z18warp_reduce_kernelI6__halfLj32ELj4EENSt9enable_ifIXsr10test_utilsE35device_test_enabled_for_warp_size_vIXT1_EEEvE4typeEPT_S5_
	.globl	_Z18warp_reduce_kernelI6__halfLj32ELj4EENSt9enable_ifIXsr10test_utilsE35device_test_enabled_for_warp_size_vIXT1_EEEvE4typeEPT_S5_
	.p2align	8
	.type	_Z18warp_reduce_kernelI6__halfLj32ELj4EENSt9enable_ifIXsr10test_utilsE35device_test_enabled_for_warp_size_vIXT1_EEEvE4typeEPT_S5_,@function
_Z18warp_reduce_kernelI6__halfLj32ELj4EENSt9enable_ifIXsr10test_utilsE35device_test_enabled_for_warp_size_vIXT1_EEEvE4typeEPT_S5_: ; @_Z18warp_reduce_kernelI6__halfLj32ELj4EENSt9enable_ifIXsr10test_utilsE35device_test_enabled_for_warp_size_vIXT1_EEEvE4typeEPT_S5_
; %bb.0:
	s_clause 0x1
	s_load_b32 s4, s[0:1], 0x1c
	s_load_b128 s[0:3], s[0:1], 0x0
	s_waitcnt lgkmcnt(0)
	s_and_b32 s4, s4, 0xffff
	s_delay_alu instid0(SALU_CYCLE_1) | instskip(SKIP_2) | instid1(VALU_DEP_2)
	v_mad_u64_u32 v[1:2], null, s15, s4, v[0:1]
	v_mov_b32_e32 v2, 0
	v_and_b32_e32 v0, 3, v0
	v_lshlrev_b64 v[2:3], 1, v[1:2]
	s_delay_alu instid0(VALU_DEP_1) | instskip(NEXT) | instid1(VALU_DEP_2)
	v_add_co_u32 v2, vcc_lo, s0, v2
	v_add_co_ci_u32_e32 v3, vcc_lo, s1, v3, vcc_lo
	s_mov_b32 s0, exec_lo
	global_load_u16 v2, v[2:3], off
	v_mbcnt_lo_u32_b32 v3, -1, 0
	s_delay_alu instid0(VALU_DEP_1) | instskip(NEXT) | instid1(VALU_DEP_1)
	v_and_b32_e32 v4, 3, v3
	v_cmp_ne_u32_e32 vcc_lo, 3, v4
	v_add_co_ci_u32_e32 v5, vcc_lo, 0, v3, vcc_lo
	v_cmp_gt_u32_e32 vcc_lo, 2, v4
	s_delay_alu instid0(VALU_DEP_2) | instskip(SKIP_1) | instid1(VALU_DEP_1)
	v_lshlrev_b32_e32 v5, 2, v5
	v_cndmask_b32_e64 v4, 0, 1, vcc_lo
	v_lshlrev_b32_e32 v4, 1, v4
	s_delay_alu instid0(VALU_DEP_1)
	v_add_lshl_u32 v3, v4, v3, 2
	s_waitcnt vmcnt(0)
	v_and_b32_e32 v6, 0xffff, v2
	ds_bpermute_b32 v5, v5, v6
	s_waitcnt lgkmcnt(0)
	v_add_f16_e32 v2, v2, v5
	s_delay_alu instid0(VALU_DEP_1)
	v_and_b32_e32 v5, 0xffff, v2
	ds_bpermute_b32 v3, v3, v5
	v_cmpx_eq_u32_e32 0, v0
	s_cbranch_execz .LBB36_2
; %bb.1:
	v_lshrrev_b32_e32 v0, 1, v1
	s_waitcnt lgkmcnt(0)
	v_add_f16_e32 v1, v2, v3
	s_delay_alu instid0(VALU_DEP_2)
	v_and_b32_e32 v0, 0x7ffffffe, v0
	global_store_b16 v0, v1, s[2:3]
.LBB36_2:
	s_nop 0
	s_sendmsg sendmsg(MSG_DEALLOC_VGPRS)
	s_endpgm
	.section	.rodata,"a",@progbits
	.p2align	6, 0x0
	.amdhsa_kernel _Z18warp_reduce_kernelI6__halfLj32ELj4EENSt9enable_ifIXsr10test_utilsE35device_test_enabled_for_warp_size_vIXT1_EEEvE4typeEPT_S5_
		.amdhsa_group_segment_fixed_size 0
		.amdhsa_private_segment_fixed_size 0
		.amdhsa_kernarg_size 272
		.amdhsa_user_sgpr_count 15
		.amdhsa_user_sgpr_dispatch_ptr 0
		.amdhsa_user_sgpr_queue_ptr 0
		.amdhsa_user_sgpr_kernarg_segment_ptr 1
		.amdhsa_user_sgpr_dispatch_id 0
		.amdhsa_user_sgpr_private_segment_size 0
		.amdhsa_wavefront_size32 1
		.amdhsa_uses_dynamic_stack 0
		.amdhsa_enable_private_segment 0
		.amdhsa_system_sgpr_workgroup_id_x 1
		.amdhsa_system_sgpr_workgroup_id_y 0
		.amdhsa_system_sgpr_workgroup_id_z 0
		.amdhsa_system_sgpr_workgroup_info 0
		.amdhsa_system_vgpr_workitem_id 0
		.amdhsa_next_free_vgpr 7
		.amdhsa_next_free_sgpr 16
		.amdhsa_reserve_vcc 1
		.amdhsa_float_round_mode_32 0
		.amdhsa_float_round_mode_16_64 0
		.amdhsa_float_denorm_mode_32 3
		.amdhsa_float_denorm_mode_16_64 3
		.amdhsa_dx10_clamp 1
		.amdhsa_ieee_mode 1
		.amdhsa_fp16_overflow 0
		.amdhsa_workgroup_processor_mode 1
		.amdhsa_memory_ordered 1
		.amdhsa_forward_progress 0
		.amdhsa_shared_vgpr_count 0
		.amdhsa_exception_fp_ieee_invalid_op 0
		.amdhsa_exception_fp_denorm_src 0
		.amdhsa_exception_fp_ieee_div_zero 0
		.amdhsa_exception_fp_ieee_overflow 0
		.amdhsa_exception_fp_ieee_underflow 0
		.amdhsa_exception_fp_ieee_inexact 0
		.amdhsa_exception_int_div_zero 0
	.end_amdhsa_kernel
	.section	.text._Z18warp_reduce_kernelI6__halfLj32ELj4EENSt9enable_ifIXsr10test_utilsE35device_test_enabled_for_warp_size_vIXT1_EEEvE4typeEPT_S5_,"axG",@progbits,_Z18warp_reduce_kernelI6__halfLj32ELj4EENSt9enable_ifIXsr10test_utilsE35device_test_enabled_for_warp_size_vIXT1_EEEvE4typeEPT_S5_,comdat
.Lfunc_end36:
	.size	_Z18warp_reduce_kernelI6__halfLj32ELj4EENSt9enable_ifIXsr10test_utilsE35device_test_enabled_for_warp_size_vIXT1_EEEvE4typeEPT_S5_, .Lfunc_end36-_Z18warp_reduce_kernelI6__halfLj32ELj4EENSt9enable_ifIXsr10test_utilsE35device_test_enabled_for_warp_size_vIXT1_EEEvE4typeEPT_S5_
                                        ; -- End function
	.section	.AMDGPU.csdata,"",@progbits
; Kernel info:
; codeLenInByte = 248
; NumSgprs: 18
; NumVgprs: 7
; ScratchSize: 0
; MemoryBound: 0
; FloatMode: 240
; IeeeMode: 1
; LDSByteSize: 0 bytes/workgroup (compile time only)
; SGPRBlocks: 2
; VGPRBlocks: 0
; NumSGPRsForWavesPerEU: 18
; NumVGPRsForWavesPerEU: 7
; Occupancy: 16
; WaveLimiterHint : 0
; COMPUTE_PGM_RSRC2:SCRATCH_EN: 0
; COMPUTE_PGM_RSRC2:USER_SGPR: 15
; COMPUTE_PGM_RSRC2:TRAP_HANDLER: 0
; COMPUTE_PGM_RSRC2:TGID_X_EN: 1
; COMPUTE_PGM_RSRC2:TGID_Y_EN: 0
; COMPUTE_PGM_RSRC2:TGID_Z_EN: 0
; COMPUTE_PGM_RSRC2:TIDIG_COMP_CNT: 0
	.section	.text._Z18warp_reduce_kernelI6__halfLj64ELj4EENSt9enable_ifIXsr10test_utilsE35device_test_enabled_for_warp_size_vIXT1_EEEvE4typeEPT_S5_,"axG",@progbits,_Z18warp_reduce_kernelI6__halfLj64ELj4EENSt9enable_ifIXsr10test_utilsE35device_test_enabled_for_warp_size_vIXT1_EEEvE4typeEPT_S5_,comdat
	.protected	_Z18warp_reduce_kernelI6__halfLj64ELj4EENSt9enable_ifIXsr10test_utilsE35device_test_enabled_for_warp_size_vIXT1_EEEvE4typeEPT_S5_ ; -- Begin function _Z18warp_reduce_kernelI6__halfLj64ELj4EENSt9enable_ifIXsr10test_utilsE35device_test_enabled_for_warp_size_vIXT1_EEEvE4typeEPT_S5_
	.globl	_Z18warp_reduce_kernelI6__halfLj64ELj4EENSt9enable_ifIXsr10test_utilsE35device_test_enabled_for_warp_size_vIXT1_EEEvE4typeEPT_S5_
	.p2align	8
	.type	_Z18warp_reduce_kernelI6__halfLj64ELj4EENSt9enable_ifIXsr10test_utilsE35device_test_enabled_for_warp_size_vIXT1_EEEvE4typeEPT_S5_,@function
_Z18warp_reduce_kernelI6__halfLj64ELj4EENSt9enable_ifIXsr10test_utilsE35device_test_enabled_for_warp_size_vIXT1_EEEvE4typeEPT_S5_: ; @_Z18warp_reduce_kernelI6__halfLj64ELj4EENSt9enable_ifIXsr10test_utilsE35device_test_enabled_for_warp_size_vIXT1_EEEvE4typeEPT_S5_
; %bb.0:
	s_clause 0x1
	s_load_b32 s4, s[0:1], 0x1c
	s_load_b128 s[0:3], s[0:1], 0x0
	s_waitcnt lgkmcnt(0)
	s_and_b32 s4, s4, 0xffff
	s_delay_alu instid0(SALU_CYCLE_1) | instskip(SKIP_2) | instid1(VALU_DEP_2)
	v_mad_u64_u32 v[1:2], null, s15, s4, v[0:1]
	v_mov_b32_e32 v2, 0
	v_and_b32_e32 v0, 3, v0
	v_lshlrev_b64 v[2:3], 1, v[1:2]
	s_delay_alu instid0(VALU_DEP_1) | instskip(NEXT) | instid1(VALU_DEP_2)
	v_add_co_u32 v2, vcc_lo, s0, v2
	v_add_co_ci_u32_e32 v3, vcc_lo, s1, v3, vcc_lo
	s_mov_b32 s0, exec_lo
	global_load_u16 v2, v[2:3], off
	v_mbcnt_lo_u32_b32 v3, -1, 0
	s_delay_alu instid0(VALU_DEP_1) | instskip(NEXT) | instid1(VALU_DEP_1)
	v_and_b32_e32 v4, 3, v3
	v_cmp_ne_u32_e32 vcc_lo, 3, v4
	v_add_co_ci_u32_e32 v5, vcc_lo, 0, v3, vcc_lo
	v_cmp_gt_u32_e32 vcc_lo, 2, v4
	s_delay_alu instid0(VALU_DEP_2) | instskip(SKIP_1) | instid1(VALU_DEP_1)
	v_lshlrev_b32_e32 v5, 2, v5
	v_cndmask_b32_e64 v4, 0, 1, vcc_lo
	v_lshlrev_b32_e32 v4, 1, v4
	s_delay_alu instid0(VALU_DEP_1)
	v_add_lshl_u32 v3, v4, v3, 2
	s_waitcnt vmcnt(0)
	v_and_b32_e32 v6, 0xffff, v2
	ds_bpermute_b32 v5, v5, v6
	s_waitcnt lgkmcnt(0)
	v_add_f16_e32 v2, v2, v5
	s_delay_alu instid0(VALU_DEP_1)
	v_and_b32_e32 v5, 0xffff, v2
	ds_bpermute_b32 v3, v3, v5
	v_cmpx_eq_u32_e32 0, v0
	s_cbranch_execz .LBB37_2
; %bb.1:
	v_lshrrev_b32_e32 v0, 1, v1
	s_waitcnt lgkmcnt(0)
	v_add_f16_e32 v1, v2, v3
	s_delay_alu instid0(VALU_DEP_2)
	v_and_b32_e32 v0, 0x7ffffffe, v0
	global_store_b16 v0, v1, s[2:3]
.LBB37_2:
	s_nop 0
	s_sendmsg sendmsg(MSG_DEALLOC_VGPRS)
	s_endpgm
	.section	.rodata,"a",@progbits
	.p2align	6, 0x0
	.amdhsa_kernel _Z18warp_reduce_kernelI6__halfLj64ELj4EENSt9enable_ifIXsr10test_utilsE35device_test_enabled_for_warp_size_vIXT1_EEEvE4typeEPT_S5_
		.amdhsa_group_segment_fixed_size 0
		.amdhsa_private_segment_fixed_size 0
		.amdhsa_kernarg_size 272
		.amdhsa_user_sgpr_count 15
		.amdhsa_user_sgpr_dispatch_ptr 0
		.amdhsa_user_sgpr_queue_ptr 0
		.amdhsa_user_sgpr_kernarg_segment_ptr 1
		.amdhsa_user_sgpr_dispatch_id 0
		.amdhsa_user_sgpr_private_segment_size 0
		.amdhsa_wavefront_size32 1
		.amdhsa_uses_dynamic_stack 0
		.amdhsa_enable_private_segment 0
		.amdhsa_system_sgpr_workgroup_id_x 1
		.amdhsa_system_sgpr_workgroup_id_y 0
		.amdhsa_system_sgpr_workgroup_id_z 0
		.amdhsa_system_sgpr_workgroup_info 0
		.amdhsa_system_vgpr_workitem_id 0
		.amdhsa_next_free_vgpr 7
		.amdhsa_next_free_sgpr 16
		.amdhsa_reserve_vcc 1
		.amdhsa_float_round_mode_32 0
		.amdhsa_float_round_mode_16_64 0
		.amdhsa_float_denorm_mode_32 3
		.amdhsa_float_denorm_mode_16_64 3
		.amdhsa_dx10_clamp 1
		.amdhsa_ieee_mode 1
		.amdhsa_fp16_overflow 0
		.amdhsa_workgroup_processor_mode 1
		.amdhsa_memory_ordered 1
		.amdhsa_forward_progress 0
		.amdhsa_shared_vgpr_count 0
		.amdhsa_exception_fp_ieee_invalid_op 0
		.amdhsa_exception_fp_denorm_src 0
		.amdhsa_exception_fp_ieee_div_zero 0
		.amdhsa_exception_fp_ieee_overflow 0
		.amdhsa_exception_fp_ieee_underflow 0
		.amdhsa_exception_fp_ieee_inexact 0
		.amdhsa_exception_int_div_zero 0
	.end_amdhsa_kernel
	.section	.text._Z18warp_reduce_kernelI6__halfLj64ELj4EENSt9enable_ifIXsr10test_utilsE35device_test_enabled_for_warp_size_vIXT1_EEEvE4typeEPT_S5_,"axG",@progbits,_Z18warp_reduce_kernelI6__halfLj64ELj4EENSt9enable_ifIXsr10test_utilsE35device_test_enabled_for_warp_size_vIXT1_EEEvE4typeEPT_S5_,comdat
.Lfunc_end37:
	.size	_Z18warp_reduce_kernelI6__halfLj64ELj4EENSt9enable_ifIXsr10test_utilsE35device_test_enabled_for_warp_size_vIXT1_EEEvE4typeEPT_S5_, .Lfunc_end37-_Z18warp_reduce_kernelI6__halfLj64ELj4EENSt9enable_ifIXsr10test_utilsE35device_test_enabled_for_warp_size_vIXT1_EEEvE4typeEPT_S5_
                                        ; -- End function
	.section	.AMDGPU.csdata,"",@progbits
; Kernel info:
; codeLenInByte = 248
; NumSgprs: 18
; NumVgprs: 7
; ScratchSize: 0
; MemoryBound: 0
; FloatMode: 240
; IeeeMode: 1
; LDSByteSize: 0 bytes/workgroup (compile time only)
; SGPRBlocks: 2
; VGPRBlocks: 0
; NumSGPRsForWavesPerEU: 18
; NumVGPRsForWavesPerEU: 7
; Occupancy: 16
; WaveLimiterHint : 0
; COMPUTE_PGM_RSRC2:SCRATCH_EN: 0
; COMPUTE_PGM_RSRC2:USER_SGPR: 15
; COMPUTE_PGM_RSRC2:TRAP_HANDLER: 0
; COMPUTE_PGM_RSRC2:TGID_X_EN: 1
; COMPUTE_PGM_RSRC2:TGID_Y_EN: 0
; COMPUTE_PGM_RSRC2:TGID_Z_EN: 0
; COMPUTE_PGM_RSRC2:TIDIG_COMP_CNT: 0
	.section	.text._Z18warp_reduce_kernelI6__halfLj32ELj2EENSt9enable_ifIXsr10test_utilsE35device_test_enabled_for_warp_size_vIXT1_EEEvE4typeEPT_S5_,"axG",@progbits,_Z18warp_reduce_kernelI6__halfLj32ELj2EENSt9enable_ifIXsr10test_utilsE35device_test_enabled_for_warp_size_vIXT1_EEEvE4typeEPT_S5_,comdat
	.protected	_Z18warp_reduce_kernelI6__halfLj32ELj2EENSt9enable_ifIXsr10test_utilsE35device_test_enabled_for_warp_size_vIXT1_EEEvE4typeEPT_S5_ ; -- Begin function _Z18warp_reduce_kernelI6__halfLj32ELj2EENSt9enable_ifIXsr10test_utilsE35device_test_enabled_for_warp_size_vIXT1_EEEvE4typeEPT_S5_
	.globl	_Z18warp_reduce_kernelI6__halfLj32ELj2EENSt9enable_ifIXsr10test_utilsE35device_test_enabled_for_warp_size_vIXT1_EEEvE4typeEPT_S5_
	.p2align	8
	.type	_Z18warp_reduce_kernelI6__halfLj32ELj2EENSt9enable_ifIXsr10test_utilsE35device_test_enabled_for_warp_size_vIXT1_EEEvE4typeEPT_S5_,@function
_Z18warp_reduce_kernelI6__halfLj32ELj2EENSt9enable_ifIXsr10test_utilsE35device_test_enabled_for_warp_size_vIXT1_EEEvE4typeEPT_S5_: ; @_Z18warp_reduce_kernelI6__halfLj32ELj2EENSt9enable_ifIXsr10test_utilsE35device_test_enabled_for_warp_size_vIXT1_EEEvE4typeEPT_S5_
; %bb.0:
	s_clause 0x1
	s_load_b32 s4, s[0:1], 0x1c
	s_load_b128 s[0:3], s[0:1], 0x0
	s_waitcnt lgkmcnt(0)
	s_and_b32 s4, s4, 0xffff
	s_delay_alu instid0(SALU_CYCLE_1) | instskip(SKIP_2) | instid1(VALU_DEP_2)
	v_mad_u64_u32 v[1:2], null, s15, s4, v[0:1]
	v_mov_b32_e32 v2, 0
	v_and_b32_e32 v0, 1, v0
	v_lshlrev_b64 v[2:3], 1, v[1:2]
	s_delay_alu instid0(VALU_DEP_1) | instskip(NEXT) | instid1(VALU_DEP_2)
	v_add_co_u32 v2, vcc_lo, s0, v2
	v_add_co_ci_u32_e32 v3, vcc_lo, s1, v3, vcc_lo
	s_mov_b32 s0, exec_lo
	global_load_u16 v2, v[2:3], off
	v_mbcnt_lo_u32_b32 v3, -1, 0
	s_delay_alu instid0(VALU_DEP_1)
	v_lshl_or_b32 v3, v3, 2, 4
	s_waitcnt vmcnt(0)
	v_and_b32_e32 v4, 0xffff, v2
	ds_bpermute_b32 v3, v3, v4
	v_cmpx_eq_u32_e32 0, v0
	s_cbranch_execz .LBB38_2
; %bb.1:
	v_and_b32_e32 v0, -2, v1
	s_waitcnt lgkmcnt(0)
	v_add_f16_e32 v1, v2, v3
	global_store_b16 v0, v1, s[2:3]
.LBB38_2:
	s_nop 0
	s_sendmsg sendmsg(MSG_DEALLOC_VGPRS)
	s_endpgm
	.section	.rodata,"a",@progbits
	.p2align	6, 0x0
	.amdhsa_kernel _Z18warp_reduce_kernelI6__halfLj32ELj2EENSt9enable_ifIXsr10test_utilsE35device_test_enabled_for_warp_size_vIXT1_EEEvE4typeEPT_S5_
		.amdhsa_group_segment_fixed_size 0
		.amdhsa_private_segment_fixed_size 0
		.amdhsa_kernarg_size 272
		.amdhsa_user_sgpr_count 15
		.amdhsa_user_sgpr_dispatch_ptr 0
		.amdhsa_user_sgpr_queue_ptr 0
		.amdhsa_user_sgpr_kernarg_segment_ptr 1
		.amdhsa_user_sgpr_dispatch_id 0
		.amdhsa_user_sgpr_private_segment_size 0
		.amdhsa_wavefront_size32 1
		.amdhsa_uses_dynamic_stack 0
		.amdhsa_enable_private_segment 0
		.amdhsa_system_sgpr_workgroup_id_x 1
		.amdhsa_system_sgpr_workgroup_id_y 0
		.amdhsa_system_sgpr_workgroup_id_z 0
		.amdhsa_system_sgpr_workgroup_info 0
		.amdhsa_system_vgpr_workitem_id 0
		.amdhsa_next_free_vgpr 5
		.amdhsa_next_free_sgpr 16
		.amdhsa_reserve_vcc 1
		.amdhsa_float_round_mode_32 0
		.amdhsa_float_round_mode_16_64 0
		.amdhsa_float_denorm_mode_32 3
		.amdhsa_float_denorm_mode_16_64 3
		.amdhsa_dx10_clamp 1
		.amdhsa_ieee_mode 1
		.amdhsa_fp16_overflow 0
		.amdhsa_workgroup_processor_mode 1
		.amdhsa_memory_ordered 1
		.amdhsa_forward_progress 0
		.amdhsa_shared_vgpr_count 0
		.amdhsa_exception_fp_ieee_invalid_op 0
		.amdhsa_exception_fp_denorm_src 0
		.amdhsa_exception_fp_ieee_div_zero 0
		.amdhsa_exception_fp_ieee_overflow 0
		.amdhsa_exception_fp_ieee_underflow 0
		.amdhsa_exception_fp_ieee_inexact 0
		.amdhsa_exception_int_div_zero 0
	.end_amdhsa_kernel
	.section	.text._Z18warp_reduce_kernelI6__halfLj32ELj2EENSt9enable_ifIXsr10test_utilsE35device_test_enabled_for_warp_size_vIXT1_EEEvE4typeEPT_S5_,"axG",@progbits,_Z18warp_reduce_kernelI6__halfLj32ELj2EENSt9enable_ifIXsr10test_utilsE35device_test_enabled_for_warp_size_vIXT1_EEEvE4typeEPT_S5_,comdat
.Lfunc_end38:
	.size	_Z18warp_reduce_kernelI6__halfLj32ELj2EENSt9enable_ifIXsr10test_utilsE35device_test_enabled_for_warp_size_vIXT1_EEEvE4typeEPT_S5_, .Lfunc_end38-_Z18warp_reduce_kernelI6__halfLj32ELj2EENSt9enable_ifIXsr10test_utilsE35device_test_enabled_for_warp_size_vIXT1_EEEvE4typeEPT_S5_
                                        ; -- End function
	.section	.AMDGPU.csdata,"",@progbits
; Kernel info:
; codeLenInByte = 168
; NumSgprs: 18
; NumVgprs: 5
; ScratchSize: 0
; MemoryBound: 0
; FloatMode: 240
; IeeeMode: 1
; LDSByteSize: 0 bytes/workgroup (compile time only)
; SGPRBlocks: 2
; VGPRBlocks: 0
; NumSGPRsForWavesPerEU: 18
; NumVGPRsForWavesPerEU: 5
; Occupancy: 16
; WaveLimiterHint : 0
; COMPUTE_PGM_RSRC2:SCRATCH_EN: 0
; COMPUTE_PGM_RSRC2:USER_SGPR: 15
; COMPUTE_PGM_RSRC2:TRAP_HANDLER: 0
; COMPUTE_PGM_RSRC2:TGID_X_EN: 1
; COMPUTE_PGM_RSRC2:TGID_Y_EN: 0
; COMPUTE_PGM_RSRC2:TGID_Z_EN: 0
; COMPUTE_PGM_RSRC2:TIDIG_COMP_CNT: 0
	.section	.text._Z18warp_reduce_kernelI6__halfLj64ELj2EENSt9enable_ifIXsr10test_utilsE35device_test_enabled_for_warp_size_vIXT1_EEEvE4typeEPT_S5_,"axG",@progbits,_Z18warp_reduce_kernelI6__halfLj64ELj2EENSt9enable_ifIXsr10test_utilsE35device_test_enabled_for_warp_size_vIXT1_EEEvE4typeEPT_S5_,comdat
	.protected	_Z18warp_reduce_kernelI6__halfLj64ELj2EENSt9enable_ifIXsr10test_utilsE35device_test_enabled_for_warp_size_vIXT1_EEEvE4typeEPT_S5_ ; -- Begin function _Z18warp_reduce_kernelI6__halfLj64ELj2EENSt9enable_ifIXsr10test_utilsE35device_test_enabled_for_warp_size_vIXT1_EEEvE4typeEPT_S5_
	.globl	_Z18warp_reduce_kernelI6__halfLj64ELj2EENSt9enable_ifIXsr10test_utilsE35device_test_enabled_for_warp_size_vIXT1_EEEvE4typeEPT_S5_
	.p2align	8
	.type	_Z18warp_reduce_kernelI6__halfLj64ELj2EENSt9enable_ifIXsr10test_utilsE35device_test_enabled_for_warp_size_vIXT1_EEEvE4typeEPT_S5_,@function
_Z18warp_reduce_kernelI6__halfLj64ELj2EENSt9enable_ifIXsr10test_utilsE35device_test_enabled_for_warp_size_vIXT1_EEEvE4typeEPT_S5_: ; @_Z18warp_reduce_kernelI6__halfLj64ELj2EENSt9enable_ifIXsr10test_utilsE35device_test_enabled_for_warp_size_vIXT1_EEEvE4typeEPT_S5_
; %bb.0:
	s_clause 0x1
	s_load_b32 s4, s[0:1], 0x1c
	s_load_b128 s[0:3], s[0:1], 0x0
	s_waitcnt lgkmcnt(0)
	s_and_b32 s4, s4, 0xffff
	s_delay_alu instid0(SALU_CYCLE_1) | instskip(SKIP_2) | instid1(VALU_DEP_2)
	v_mad_u64_u32 v[1:2], null, s15, s4, v[0:1]
	v_mov_b32_e32 v2, 0
	v_and_b32_e32 v0, 1, v0
	v_lshlrev_b64 v[2:3], 1, v[1:2]
	s_delay_alu instid0(VALU_DEP_1) | instskip(NEXT) | instid1(VALU_DEP_2)
	v_add_co_u32 v2, vcc_lo, s0, v2
	v_add_co_ci_u32_e32 v3, vcc_lo, s1, v3, vcc_lo
	s_mov_b32 s0, exec_lo
	global_load_u16 v2, v[2:3], off
	v_mbcnt_lo_u32_b32 v3, -1, 0
	s_delay_alu instid0(VALU_DEP_1)
	v_lshl_or_b32 v3, v3, 2, 4
	s_waitcnt vmcnt(0)
	v_and_b32_e32 v4, 0xffff, v2
	ds_bpermute_b32 v3, v3, v4
	v_cmpx_eq_u32_e32 0, v0
	s_cbranch_execz .LBB39_2
; %bb.1:
	v_and_b32_e32 v0, -2, v1
	s_waitcnt lgkmcnt(0)
	v_add_f16_e32 v1, v2, v3
	global_store_b16 v0, v1, s[2:3]
.LBB39_2:
	s_nop 0
	s_sendmsg sendmsg(MSG_DEALLOC_VGPRS)
	s_endpgm
	.section	.rodata,"a",@progbits
	.p2align	6, 0x0
	.amdhsa_kernel _Z18warp_reduce_kernelI6__halfLj64ELj2EENSt9enable_ifIXsr10test_utilsE35device_test_enabled_for_warp_size_vIXT1_EEEvE4typeEPT_S5_
		.amdhsa_group_segment_fixed_size 0
		.amdhsa_private_segment_fixed_size 0
		.amdhsa_kernarg_size 272
		.amdhsa_user_sgpr_count 15
		.amdhsa_user_sgpr_dispatch_ptr 0
		.amdhsa_user_sgpr_queue_ptr 0
		.amdhsa_user_sgpr_kernarg_segment_ptr 1
		.amdhsa_user_sgpr_dispatch_id 0
		.amdhsa_user_sgpr_private_segment_size 0
		.amdhsa_wavefront_size32 1
		.amdhsa_uses_dynamic_stack 0
		.amdhsa_enable_private_segment 0
		.amdhsa_system_sgpr_workgroup_id_x 1
		.amdhsa_system_sgpr_workgroup_id_y 0
		.amdhsa_system_sgpr_workgroup_id_z 0
		.amdhsa_system_sgpr_workgroup_info 0
		.amdhsa_system_vgpr_workitem_id 0
		.amdhsa_next_free_vgpr 5
		.amdhsa_next_free_sgpr 16
		.amdhsa_reserve_vcc 1
		.amdhsa_float_round_mode_32 0
		.amdhsa_float_round_mode_16_64 0
		.amdhsa_float_denorm_mode_32 3
		.amdhsa_float_denorm_mode_16_64 3
		.amdhsa_dx10_clamp 1
		.amdhsa_ieee_mode 1
		.amdhsa_fp16_overflow 0
		.amdhsa_workgroup_processor_mode 1
		.amdhsa_memory_ordered 1
		.amdhsa_forward_progress 0
		.amdhsa_shared_vgpr_count 0
		.amdhsa_exception_fp_ieee_invalid_op 0
		.amdhsa_exception_fp_denorm_src 0
		.amdhsa_exception_fp_ieee_div_zero 0
		.amdhsa_exception_fp_ieee_overflow 0
		.amdhsa_exception_fp_ieee_underflow 0
		.amdhsa_exception_fp_ieee_inexact 0
		.amdhsa_exception_int_div_zero 0
	.end_amdhsa_kernel
	.section	.text._Z18warp_reduce_kernelI6__halfLj64ELj2EENSt9enable_ifIXsr10test_utilsE35device_test_enabled_for_warp_size_vIXT1_EEEvE4typeEPT_S5_,"axG",@progbits,_Z18warp_reduce_kernelI6__halfLj64ELj2EENSt9enable_ifIXsr10test_utilsE35device_test_enabled_for_warp_size_vIXT1_EEEvE4typeEPT_S5_,comdat
.Lfunc_end39:
	.size	_Z18warp_reduce_kernelI6__halfLj64ELj2EENSt9enable_ifIXsr10test_utilsE35device_test_enabled_for_warp_size_vIXT1_EEEvE4typeEPT_S5_, .Lfunc_end39-_Z18warp_reduce_kernelI6__halfLj64ELj2EENSt9enable_ifIXsr10test_utilsE35device_test_enabled_for_warp_size_vIXT1_EEEvE4typeEPT_S5_
                                        ; -- End function
	.section	.AMDGPU.csdata,"",@progbits
; Kernel info:
; codeLenInByte = 168
; NumSgprs: 18
; NumVgprs: 5
; ScratchSize: 0
; MemoryBound: 0
; FloatMode: 240
; IeeeMode: 1
; LDSByteSize: 0 bytes/workgroup (compile time only)
; SGPRBlocks: 2
; VGPRBlocks: 0
; NumSGPRsForWavesPerEU: 18
; NumVGPRsForWavesPerEU: 5
; Occupancy: 16
; WaveLimiterHint : 0
; COMPUTE_PGM_RSRC2:SCRATCH_EN: 0
; COMPUTE_PGM_RSRC2:USER_SGPR: 15
; COMPUTE_PGM_RSRC2:TRAP_HANDLER: 0
; COMPUTE_PGM_RSRC2:TGID_X_EN: 1
; COMPUTE_PGM_RSRC2:TGID_Y_EN: 0
; COMPUTE_PGM_RSRC2:TGID_Z_EN: 0
; COMPUTE_PGM_RSRC2:TIDIG_COMP_CNT: 0
	.section	.text._Z18warp_reduce_kernelI6__halfLj32ELj1EENSt9enable_ifIXsr10test_utilsE35device_test_enabled_for_warp_size_vIXT1_EEEvE4typeEPT_S5_,"axG",@progbits,_Z18warp_reduce_kernelI6__halfLj32ELj1EENSt9enable_ifIXsr10test_utilsE35device_test_enabled_for_warp_size_vIXT1_EEEvE4typeEPT_S5_,comdat
	.protected	_Z18warp_reduce_kernelI6__halfLj32ELj1EENSt9enable_ifIXsr10test_utilsE35device_test_enabled_for_warp_size_vIXT1_EEEvE4typeEPT_S5_ ; -- Begin function _Z18warp_reduce_kernelI6__halfLj32ELj1EENSt9enable_ifIXsr10test_utilsE35device_test_enabled_for_warp_size_vIXT1_EEEvE4typeEPT_S5_
	.globl	_Z18warp_reduce_kernelI6__halfLj32ELj1EENSt9enable_ifIXsr10test_utilsE35device_test_enabled_for_warp_size_vIXT1_EEEvE4typeEPT_S5_
	.p2align	8
	.type	_Z18warp_reduce_kernelI6__halfLj32ELj1EENSt9enable_ifIXsr10test_utilsE35device_test_enabled_for_warp_size_vIXT1_EEEvE4typeEPT_S5_,@function
_Z18warp_reduce_kernelI6__halfLj32ELj1EENSt9enable_ifIXsr10test_utilsE35device_test_enabled_for_warp_size_vIXT1_EEEvE4typeEPT_S5_: ; @_Z18warp_reduce_kernelI6__halfLj32ELj1EENSt9enable_ifIXsr10test_utilsE35device_test_enabled_for_warp_size_vIXT1_EEEvE4typeEPT_S5_
; %bb.0:
	s_clause 0x1
	s_load_b32 s4, s[0:1], 0x1c
	s_load_b128 s[0:3], s[0:1], 0x0
	s_waitcnt lgkmcnt(0)
	s_and_b32 s4, s4, 0xffff
	s_delay_alu instid0(SALU_CYCLE_1) | instskip(SKIP_1) | instid1(VALU_DEP_1)
	v_mad_u64_u32 v[1:2], null, s15, s4, v[0:1]
	v_mov_b32_e32 v2, 0
	v_lshlrev_b64 v[0:1], 1, v[1:2]
	s_delay_alu instid0(VALU_DEP_1) | instskip(NEXT) | instid1(VALU_DEP_2)
	v_add_co_u32 v2, vcc_lo, s0, v0
	v_add_co_ci_u32_e32 v3, vcc_lo, s1, v1, vcc_lo
	v_add_co_u32 v0, vcc_lo, s2, v0
	v_add_co_ci_u32_e32 v1, vcc_lo, s3, v1, vcc_lo
	global_load_u16 v2, v[2:3], off
	s_waitcnt vmcnt(0)
	global_store_b16 v[0:1], v2, off
	s_nop 0
	s_sendmsg sendmsg(MSG_DEALLOC_VGPRS)
	s_endpgm
	.section	.rodata,"a",@progbits
	.p2align	6, 0x0
	.amdhsa_kernel _Z18warp_reduce_kernelI6__halfLj32ELj1EENSt9enable_ifIXsr10test_utilsE35device_test_enabled_for_warp_size_vIXT1_EEEvE4typeEPT_S5_
		.amdhsa_group_segment_fixed_size 0
		.amdhsa_private_segment_fixed_size 0
		.amdhsa_kernarg_size 272
		.amdhsa_user_sgpr_count 15
		.amdhsa_user_sgpr_dispatch_ptr 0
		.amdhsa_user_sgpr_queue_ptr 0
		.amdhsa_user_sgpr_kernarg_segment_ptr 1
		.amdhsa_user_sgpr_dispatch_id 0
		.amdhsa_user_sgpr_private_segment_size 0
		.amdhsa_wavefront_size32 1
		.amdhsa_uses_dynamic_stack 0
		.amdhsa_enable_private_segment 0
		.amdhsa_system_sgpr_workgroup_id_x 1
		.amdhsa_system_sgpr_workgroup_id_y 0
		.amdhsa_system_sgpr_workgroup_id_z 0
		.amdhsa_system_sgpr_workgroup_info 0
		.amdhsa_system_vgpr_workitem_id 0
		.amdhsa_next_free_vgpr 4
		.amdhsa_next_free_sgpr 16
		.amdhsa_reserve_vcc 1
		.amdhsa_float_round_mode_32 0
		.amdhsa_float_round_mode_16_64 0
		.amdhsa_float_denorm_mode_32 3
		.amdhsa_float_denorm_mode_16_64 3
		.amdhsa_dx10_clamp 1
		.amdhsa_ieee_mode 1
		.amdhsa_fp16_overflow 0
		.amdhsa_workgroup_processor_mode 1
		.amdhsa_memory_ordered 1
		.amdhsa_forward_progress 0
		.amdhsa_shared_vgpr_count 0
		.amdhsa_exception_fp_ieee_invalid_op 0
		.amdhsa_exception_fp_denorm_src 0
		.amdhsa_exception_fp_ieee_div_zero 0
		.amdhsa_exception_fp_ieee_overflow 0
		.amdhsa_exception_fp_ieee_underflow 0
		.amdhsa_exception_fp_ieee_inexact 0
		.amdhsa_exception_int_div_zero 0
	.end_amdhsa_kernel
	.section	.text._Z18warp_reduce_kernelI6__halfLj32ELj1EENSt9enable_ifIXsr10test_utilsE35device_test_enabled_for_warp_size_vIXT1_EEEvE4typeEPT_S5_,"axG",@progbits,_Z18warp_reduce_kernelI6__halfLj32ELj1EENSt9enable_ifIXsr10test_utilsE35device_test_enabled_for_warp_size_vIXT1_EEEvE4typeEPT_S5_,comdat
.Lfunc_end40:
	.size	_Z18warp_reduce_kernelI6__halfLj32ELj1EENSt9enable_ifIXsr10test_utilsE35device_test_enabled_for_warp_size_vIXT1_EEEvE4typeEPT_S5_, .Lfunc_end40-_Z18warp_reduce_kernelI6__halfLj32ELj1EENSt9enable_ifIXsr10test_utilsE35device_test_enabled_for_warp_size_vIXT1_EEEvE4typeEPT_S5_
                                        ; -- End function
	.section	.AMDGPU.csdata,"",@progbits
; Kernel info:
; codeLenInByte = 116
; NumSgprs: 18
; NumVgprs: 4
; ScratchSize: 0
; MemoryBound: 0
; FloatMode: 240
; IeeeMode: 1
; LDSByteSize: 0 bytes/workgroup (compile time only)
; SGPRBlocks: 2
; VGPRBlocks: 0
; NumSGPRsForWavesPerEU: 18
; NumVGPRsForWavesPerEU: 4
; Occupancy: 16
; WaveLimiterHint : 0
; COMPUTE_PGM_RSRC2:SCRATCH_EN: 0
; COMPUTE_PGM_RSRC2:USER_SGPR: 15
; COMPUTE_PGM_RSRC2:TRAP_HANDLER: 0
; COMPUTE_PGM_RSRC2:TGID_X_EN: 1
; COMPUTE_PGM_RSRC2:TGID_Y_EN: 0
; COMPUTE_PGM_RSRC2:TGID_Z_EN: 0
; COMPUTE_PGM_RSRC2:TIDIG_COMP_CNT: 0
	.section	.text._Z18warp_reduce_kernelI6__halfLj64ELj1EENSt9enable_ifIXsr10test_utilsE35device_test_enabled_for_warp_size_vIXT1_EEEvE4typeEPT_S5_,"axG",@progbits,_Z18warp_reduce_kernelI6__halfLj64ELj1EENSt9enable_ifIXsr10test_utilsE35device_test_enabled_for_warp_size_vIXT1_EEEvE4typeEPT_S5_,comdat
	.protected	_Z18warp_reduce_kernelI6__halfLj64ELj1EENSt9enable_ifIXsr10test_utilsE35device_test_enabled_for_warp_size_vIXT1_EEEvE4typeEPT_S5_ ; -- Begin function _Z18warp_reduce_kernelI6__halfLj64ELj1EENSt9enable_ifIXsr10test_utilsE35device_test_enabled_for_warp_size_vIXT1_EEEvE4typeEPT_S5_
	.globl	_Z18warp_reduce_kernelI6__halfLj64ELj1EENSt9enable_ifIXsr10test_utilsE35device_test_enabled_for_warp_size_vIXT1_EEEvE4typeEPT_S5_
	.p2align	8
	.type	_Z18warp_reduce_kernelI6__halfLj64ELj1EENSt9enable_ifIXsr10test_utilsE35device_test_enabled_for_warp_size_vIXT1_EEEvE4typeEPT_S5_,@function
_Z18warp_reduce_kernelI6__halfLj64ELj1EENSt9enable_ifIXsr10test_utilsE35device_test_enabled_for_warp_size_vIXT1_EEEvE4typeEPT_S5_: ; @_Z18warp_reduce_kernelI6__halfLj64ELj1EENSt9enable_ifIXsr10test_utilsE35device_test_enabled_for_warp_size_vIXT1_EEEvE4typeEPT_S5_
; %bb.0:
	s_clause 0x1
	s_load_b32 s4, s[0:1], 0x1c
	s_load_b128 s[0:3], s[0:1], 0x0
	s_waitcnt lgkmcnt(0)
	s_and_b32 s4, s4, 0xffff
	s_delay_alu instid0(SALU_CYCLE_1) | instskip(SKIP_1) | instid1(VALU_DEP_1)
	v_mad_u64_u32 v[1:2], null, s15, s4, v[0:1]
	v_mov_b32_e32 v2, 0
	v_lshlrev_b64 v[0:1], 1, v[1:2]
	s_delay_alu instid0(VALU_DEP_1) | instskip(NEXT) | instid1(VALU_DEP_2)
	v_add_co_u32 v2, vcc_lo, s0, v0
	v_add_co_ci_u32_e32 v3, vcc_lo, s1, v1, vcc_lo
	v_add_co_u32 v0, vcc_lo, s2, v0
	v_add_co_ci_u32_e32 v1, vcc_lo, s3, v1, vcc_lo
	global_load_u16 v2, v[2:3], off
	s_waitcnt vmcnt(0)
	global_store_b16 v[0:1], v2, off
	s_nop 0
	s_sendmsg sendmsg(MSG_DEALLOC_VGPRS)
	s_endpgm
	.section	.rodata,"a",@progbits
	.p2align	6, 0x0
	.amdhsa_kernel _Z18warp_reduce_kernelI6__halfLj64ELj1EENSt9enable_ifIXsr10test_utilsE35device_test_enabled_for_warp_size_vIXT1_EEEvE4typeEPT_S5_
		.amdhsa_group_segment_fixed_size 0
		.amdhsa_private_segment_fixed_size 0
		.amdhsa_kernarg_size 272
		.amdhsa_user_sgpr_count 15
		.amdhsa_user_sgpr_dispatch_ptr 0
		.amdhsa_user_sgpr_queue_ptr 0
		.amdhsa_user_sgpr_kernarg_segment_ptr 1
		.amdhsa_user_sgpr_dispatch_id 0
		.amdhsa_user_sgpr_private_segment_size 0
		.amdhsa_wavefront_size32 1
		.amdhsa_uses_dynamic_stack 0
		.amdhsa_enable_private_segment 0
		.amdhsa_system_sgpr_workgroup_id_x 1
		.amdhsa_system_sgpr_workgroup_id_y 0
		.amdhsa_system_sgpr_workgroup_id_z 0
		.amdhsa_system_sgpr_workgroup_info 0
		.amdhsa_system_vgpr_workitem_id 0
		.amdhsa_next_free_vgpr 4
		.amdhsa_next_free_sgpr 16
		.amdhsa_reserve_vcc 1
		.amdhsa_float_round_mode_32 0
		.amdhsa_float_round_mode_16_64 0
		.amdhsa_float_denorm_mode_32 3
		.amdhsa_float_denorm_mode_16_64 3
		.amdhsa_dx10_clamp 1
		.amdhsa_ieee_mode 1
		.amdhsa_fp16_overflow 0
		.amdhsa_workgroup_processor_mode 1
		.amdhsa_memory_ordered 1
		.amdhsa_forward_progress 0
		.amdhsa_shared_vgpr_count 0
		.amdhsa_exception_fp_ieee_invalid_op 0
		.amdhsa_exception_fp_denorm_src 0
		.amdhsa_exception_fp_ieee_div_zero 0
		.amdhsa_exception_fp_ieee_overflow 0
		.amdhsa_exception_fp_ieee_underflow 0
		.amdhsa_exception_fp_ieee_inexact 0
		.amdhsa_exception_int_div_zero 0
	.end_amdhsa_kernel
	.section	.text._Z18warp_reduce_kernelI6__halfLj64ELj1EENSt9enable_ifIXsr10test_utilsE35device_test_enabled_for_warp_size_vIXT1_EEEvE4typeEPT_S5_,"axG",@progbits,_Z18warp_reduce_kernelI6__halfLj64ELj1EENSt9enable_ifIXsr10test_utilsE35device_test_enabled_for_warp_size_vIXT1_EEEvE4typeEPT_S5_,comdat
.Lfunc_end41:
	.size	_Z18warp_reduce_kernelI6__halfLj64ELj1EENSt9enable_ifIXsr10test_utilsE35device_test_enabled_for_warp_size_vIXT1_EEEvE4typeEPT_S5_, .Lfunc_end41-_Z18warp_reduce_kernelI6__halfLj64ELj1EENSt9enable_ifIXsr10test_utilsE35device_test_enabled_for_warp_size_vIXT1_EEEvE4typeEPT_S5_
                                        ; -- End function
	.section	.AMDGPU.csdata,"",@progbits
; Kernel info:
; codeLenInByte = 116
; NumSgprs: 18
; NumVgprs: 4
; ScratchSize: 0
; MemoryBound: 0
; FloatMode: 240
; IeeeMode: 1
; LDSByteSize: 0 bytes/workgroup (compile time only)
; SGPRBlocks: 2
; VGPRBlocks: 0
; NumSGPRsForWavesPerEU: 18
; NumVGPRsForWavesPerEU: 4
; Occupancy: 16
; WaveLimiterHint : 0
; COMPUTE_PGM_RSRC2:SCRATCH_EN: 0
; COMPUTE_PGM_RSRC2:USER_SGPR: 15
; COMPUTE_PGM_RSRC2:TRAP_HANDLER: 0
; COMPUTE_PGM_RSRC2:TGID_X_EN: 1
; COMPUTE_PGM_RSRC2:TGID_Y_EN: 0
; COMPUTE_PGM_RSRC2:TGID_Z_EN: 0
; COMPUTE_PGM_RSRC2:TIDIG_COMP_CNT: 0
	.section	.text._Z18warp_reduce_kernelIfLj256ELj64EENSt9enable_ifIXntsr10test_utilsE35device_test_enabled_for_warp_size_vIXT1_EEEvE4typeEPT_S4_,"axG",@progbits,_Z18warp_reduce_kernelIfLj256ELj64EENSt9enable_ifIXntsr10test_utilsE35device_test_enabled_for_warp_size_vIXT1_EEEvE4typeEPT_S4_,comdat
	.protected	_Z18warp_reduce_kernelIfLj256ELj64EENSt9enable_ifIXntsr10test_utilsE35device_test_enabled_for_warp_size_vIXT1_EEEvE4typeEPT_S4_ ; -- Begin function _Z18warp_reduce_kernelIfLj256ELj64EENSt9enable_ifIXntsr10test_utilsE35device_test_enabled_for_warp_size_vIXT1_EEEvE4typeEPT_S4_
	.globl	_Z18warp_reduce_kernelIfLj256ELj64EENSt9enable_ifIXntsr10test_utilsE35device_test_enabled_for_warp_size_vIXT1_EEEvE4typeEPT_S4_
	.p2align	8
	.type	_Z18warp_reduce_kernelIfLj256ELj64EENSt9enable_ifIXntsr10test_utilsE35device_test_enabled_for_warp_size_vIXT1_EEEvE4typeEPT_S4_,@function
_Z18warp_reduce_kernelIfLj256ELj64EENSt9enable_ifIXntsr10test_utilsE35device_test_enabled_for_warp_size_vIXT1_EEEvE4typeEPT_S4_: ; @_Z18warp_reduce_kernelIfLj256ELj64EENSt9enable_ifIXntsr10test_utilsE35device_test_enabled_for_warp_size_vIXT1_EEEvE4typeEPT_S4_
; %bb.0:
	s_endpgm
	.section	.rodata,"a",@progbits
	.p2align	6, 0x0
	.amdhsa_kernel _Z18warp_reduce_kernelIfLj256ELj64EENSt9enable_ifIXntsr10test_utilsE35device_test_enabled_for_warp_size_vIXT1_EEEvE4typeEPT_S4_
		.amdhsa_group_segment_fixed_size 0
		.amdhsa_private_segment_fixed_size 0
		.amdhsa_kernarg_size 16
		.amdhsa_user_sgpr_count 15
		.amdhsa_user_sgpr_dispatch_ptr 0
		.amdhsa_user_sgpr_queue_ptr 0
		.amdhsa_user_sgpr_kernarg_segment_ptr 1
		.amdhsa_user_sgpr_dispatch_id 0
		.amdhsa_user_sgpr_private_segment_size 0
		.amdhsa_wavefront_size32 1
		.amdhsa_uses_dynamic_stack 0
		.amdhsa_enable_private_segment 0
		.amdhsa_system_sgpr_workgroup_id_x 1
		.amdhsa_system_sgpr_workgroup_id_y 0
		.amdhsa_system_sgpr_workgroup_id_z 0
		.amdhsa_system_sgpr_workgroup_info 0
		.amdhsa_system_vgpr_workitem_id 0
		.amdhsa_next_free_vgpr 1
		.amdhsa_next_free_sgpr 1
		.amdhsa_reserve_vcc 0
		.amdhsa_float_round_mode_32 0
		.amdhsa_float_round_mode_16_64 0
		.amdhsa_float_denorm_mode_32 3
		.amdhsa_float_denorm_mode_16_64 3
		.amdhsa_dx10_clamp 1
		.amdhsa_ieee_mode 1
		.amdhsa_fp16_overflow 0
		.amdhsa_workgroup_processor_mode 1
		.amdhsa_memory_ordered 1
		.amdhsa_forward_progress 0
		.amdhsa_shared_vgpr_count 0
		.amdhsa_exception_fp_ieee_invalid_op 0
		.amdhsa_exception_fp_denorm_src 0
		.amdhsa_exception_fp_ieee_div_zero 0
		.amdhsa_exception_fp_ieee_overflow 0
		.amdhsa_exception_fp_ieee_underflow 0
		.amdhsa_exception_fp_ieee_inexact 0
		.amdhsa_exception_int_div_zero 0
	.end_amdhsa_kernel
	.section	.text._Z18warp_reduce_kernelIfLj256ELj64EENSt9enable_ifIXntsr10test_utilsE35device_test_enabled_for_warp_size_vIXT1_EEEvE4typeEPT_S4_,"axG",@progbits,_Z18warp_reduce_kernelIfLj256ELj64EENSt9enable_ifIXntsr10test_utilsE35device_test_enabled_for_warp_size_vIXT1_EEEvE4typeEPT_S4_,comdat
.Lfunc_end42:
	.size	_Z18warp_reduce_kernelIfLj256ELj64EENSt9enable_ifIXntsr10test_utilsE35device_test_enabled_for_warp_size_vIXT1_EEEvE4typeEPT_S4_, .Lfunc_end42-_Z18warp_reduce_kernelIfLj256ELj64EENSt9enable_ifIXntsr10test_utilsE35device_test_enabled_for_warp_size_vIXT1_EEEvE4typeEPT_S4_
                                        ; -- End function
	.section	.AMDGPU.csdata,"",@progbits
; Kernel info:
; codeLenInByte = 4
; NumSgprs: 0
; NumVgprs: 0
; ScratchSize: 0
; MemoryBound: 0
; FloatMode: 240
; IeeeMode: 1
; LDSByteSize: 0 bytes/workgroup (compile time only)
; SGPRBlocks: 0
; VGPRBlocks: 0
; NumSGPRsForWavesPerEU: 1
; NumVGPRsForWavesPerEU: 1
; Occupancy: 16
; WaveLimiterHint : 0
; COMPUTE_PGM_RSRC2:SCRATCH_EN: 0
; COMPUTE_PGM_RSRC2:USER_SGPR: 15
; COMPUTE_PGM_RSRC2:TRAP_HANDLER: 0
; COMPUTE_PGM_RSRC2:TGID_X_EN: 1
; COMPUTE_PGM_RSRC2:TGID_Y_EN: 0
; COMPUTE_PGM_RSRC2:TGID_Z_EN: 0
; COMPUTE_PGM_RSRC2:TIDIG_COMP_CNT: 0
	.section	.text._Z18warp_reduce_kernelIfLj128ELj32EENSt9enable_ifIXsr10test_utilsE35device_test_enabled_for_warp_size_vIXT1_EEEvE4typeEPT_S4_,"axG",@progbits,_Z18warp_reduce_kernelIfLj128ELj32EENSt9enable_ifIXsr10test_utilsE35device_test_enabled_for_warp_size_vIXT1_EEEvE4typeEPT_S4_,comdat
	.protected	_Z18warp_reduce_kernelIfLj128ELj32EENSt9enable_ifIXsr10test_utilsE35device_test_enabled_for_warp_size_vIXT1_EEEvE4typeEPT_S4_ ; -- Begin function _Z18warp_reduce_kernelIfLj128ELj32EENSt9enable_ifIXsr10test_utilsE35device_test_enabled_for_warp_size_vIXT1_EEEvE4typeEPT_S4_
	.globl	_Z18warp_reduce_kernelIfLj128ELj32EENSt9enable_ifIXsr10test_utilsE35device_test_enabled_for_warp_size_vIXT1_EEEvE4typeEPT_S4_
	.p2align	8
	.type	_Z18warp_reduce_kernelIfLj128ELj32EENSt9enable_ifIXsr10test_utilsE35device_test_enabled_for_warp_size_vIXT1_EEEvE4typeEPT_S4_,@function
_Z18warp_reduce_kernelIfLj128ELj32EENSt9enable_ifIXsr10test_utilsE35device_test_enabled_for_warp_size_vIXT1_EEEvE4typeEPT_S4_: ; @_Z18warp_reduce_kernelIfLj128ELj32EENSt9enable_ifIXsr10test_utilsE35device_test_enabled_for_warp_size_vIXT1_EEEvE4typeEPT_S4_
; %bb.0:
	s_clause 0x1
	s_load_b32 s4, s[0:1], 0x1c
	s_load_b128 s[0:3], s[0:1], 0x0
	s_waitcnt lgkmcnt(0)
	s_and_b32 s4, s4, 0xffff
	s_delay_alu instid0(SALU_CYCLE_1) | instskip(SKIP_2) | instid1(VALU_DEP_2)
	v_mad_u64_u32 v[1:2], null, s15, s4, v[0:1]
	v_mov_b32_e32 v2, 0
	v_and_b32_e32 v0, 31, v0
	v_lshlrev_b64 v[3:4], 2, v[1:2]
	s_delay_alu instid0(VALU_DEP_1) | instskip(NEXT) | instid1(VALU_DEP_2)
	v_add_co_u32 v3, vcc_lo, s0, v3
	v_add_co_ci_u32_e32 v4, vcc_lo, s1, v4, vcc_lo
	s_mov_b32 s0, exec_lo
	global_load_b32 v3, v[3:4], off
	s_waitcnt vmcnt(0)
	v_mov_b32_dpp v4, v3 quad_perm:[1,0,3,2] row_mask:0xf bank_mask:0xf
	s_delay_alu instid0(VALU_DEP_1) | instskip(NEXT) | instid1(VALU_DEP_1)
	v_add_f32_e32 v3, v3, v4
	v_mov_b32_dpp v4, v3 quad_perm:[2,3,0,1] row_mask:0xf bank_mask:0xf
	s_delay_alu instid0(VALU_DEP_1) | instskip(NEXT) | instid1(VALU_DEP_1)
	v_add_f32_e32 v3, v3, v4
	v_mov_b32_dpp v4, v3 row_ror:4 row_mask:0xf bank_mask:0xf
	s_delay_alu instid0(VALU_DEP_1) | instskip(NEXT) | instid1(VALU_DEP_1)
	v_add_f32_e32 v3, v3, v4
	v_mov_b32_dpp v4, v3 row_ror:8 row_mask:0xf bank_mask:0xf
	s_delay_alu instid0(VALU_DEP_1)
	v_add_f32_e32 v3, v3, v4
	ds_swizzle_b32 v4, v3 offset:swizzle(BROADCAST,32,15)
	s_waitcnt lgkmcnt(0)
	v_add_f32_e32 v3, v3, v4
	ds_bpermute_b32 v2, v2, v3 offset:124
	v_cmpx_eq_u32_e32 0, v0
	s_cbranch_execz .LBB43_2
; %bb.1:
	v_lshrrev_b32_e32 v0, 3, v1
	s_delay_alu instid0(VALU_DEP_1)
	v_and_b32_e32 v0, 0x1ffffffc, v0
	s_waitcnt lgkmcnt(0)
	global_store_b32 v0, v2, s[2:3]
.LBB43_2:
	s_nop 0
	s_sendmsg sendmsg(MSG_DEALLOC_VGPRS)
	s_endpgm
	.section	.rodata,"a",@progbits
	.p2align	6, 0x0
	.amdhsa_kernel _Z18warp_reduce_kernelIfLj128ELj32EENSt9enable_ifIXsr10test_utilsE35device_test_enabled_for_warp_size_vIXT1_EEEvE4typeEPT_S4_
		.amdhsa_group_segment_fixed_size 0
		.amdhsa_private_segment_fixed_size 0
		.amdhsa_kernarg_size 272
		.amdhsa_user_sgpr_count 15
		.amdhsa_user_sgpr_dispatch_ptr 0
		.amdhsa_user_sgpr_queue_ptr 0
		.amdhsa_user_sgpr_kernarg_segment_ptr 1
		.amdhsa_user_sgpr_dispatch_id 0
		.amdhsa_user_sgpr_private_segment_size 0
		.amdhsa_wavefront_size32 1
		.amdhsa_uses_dynamic_stack 0
		.amdhsa_enable_private_segment 0
		.amdhsa_system_sgpr_workgroup_id_x 1
		.amdhsa_system_sgpr_workgroup_id_y 0
		.amdhsa_system_sgpr_workgroup_id_z 0
		.amdhsa_system_sgpr_workgroup_info 0
		.amdhsa_system_vgpr_workitem_id 0
		.amdhsa_next_free_vgpr 5
		.amdhsa_next_free_sgpr 16
		.amdhsa_reserve_vcc 1
		.amdhsa_float_round_mode_32 0
		.amdhsa_float_round_mode_16_64 0
		.amdhsa_float_denorm_mode_32 3
		.amdhsa_float_denorm_mode_16_64 3
		.amdhsa_dx10_clamp 1
		.amdhsa_ieee_mode 1
		.amdhsa_fp16_overflow 0
		.amdhsa_workgroup_processor_mode 1
		.amdhsa_memory_ordered 1
		.amdhsa_forward_progress 0
		.amdhsa_shared_vgpr_count 0
		.amdhsa_exception_fp_ieee_invalid_op 0
		.amdhsa_exception_fp_denorm_src 0
		.amdhsa_exception_fp_ieee_div_zero 0
		.amdhsa_exception_fp_ieee_overflow 0
		.amdhsa_exception_fp_ieee_underflow 0
		.amdhsa_exception_fp_ieee_inexact 0
		.amdhsa_exception_int_div_zero 0
	.end_amdhsa_kernel
	.section	.text._Z18warp_reduce_kernelIfLj128ELj32EENSt9enable_ifIXsr10test_utilsE35device_test_enabled_for_warp_size_vIXT1_EEEvE4typeEPT_S4_,"axG",@progbits,_Z18warp_reduce_kernelIfLj128ELj32EENSt9enable_ifIXsr10test_utilsE35device_test_enabled_for_warp_size_vIXT1_EEEvE4typeEPT_S4_,comdat
.Lfunc_end43:
	.size	_Z18warp_reduce_kernelIfLj128ELj32EENSt9enable_ifIXsr10test_utilsE35device_test_enabled_for_warp_size_vIXT1_EEEvE4typeEPT_S4_, .Lfunc_end43-_Z18warp_reduce_kernelIfLj128ELj32EENSt9enable_ifIXsr10test_utilsE35device_test_enabled_for_warp_size_vIXT1_EEEvE4typeEPT_S4_
                                        ; -- End function
	.section	.AMDGPU.csdata,"",@progbits
; Kernel info:
; codeLenInByte = 228
; NumSgprs: 18
; NumVgprs: 5
; ScratchSize: 0
; MemoryBound: 0
; FloatMode: 240
; IeeeMode: 1
; LDSByteSize: 0 bytes/workgroup (compile time only)
; SGPRBlocks: 2
; VGPRBlocks: 0
; NumSGPRsForWavesPerEU: 18
; NumVGPRsForWavesPerEU: 5
; Occupancy: 16
; WaveLimiterHint : 0
; COMPUTE_PGM_RSRC2:SCRATCH_EN: 0
; COMPUTE_PGM_RSRC2:USER_SGPR: 15
; COMPUTE_PGM_RSRC2:TRAP_HANDLER: 0
; COMPUTE_PGM_RSRC2:TGID_X_EN: 1
; COMPUTE_PGM_RSRC2:TGID_Y_EN: 0
; COMPUTE_PGM_RSRC2:TGID_Z_EN: 0
; COMPUTE_PGM_RSRC2:TIDIG_COMP_CNT: 0
	.section	.text._Z18warp_reduce_kernelIfLj64ELj16EENSt9enable_ifIXsr10test_utilsE35device_test_enabled_for_warp_size_vIXT1_EEEvE4typeEPT_S4_,"axG",@progbits,_Z18warp_reduce_kernelIfLj64ELj16EENSt9enable_ifIXsr10test_utilsE35device_test_enabled_for_warp_size_vIXT1_EEEvE4typeEPT_S4_,comdat
	.protected	_Z18warp_reduce_kernelIfLj64ELj16EENSt9enable_ifIXsr10test_utilsE35device_test_enabled_for_warp_size_vIXT1_EEEvE4typeEPT_S4_ ; -- Begin function _Z18warp_reduce_kernelIfLj64ELj16EENSt9enable_ifIXsr10test_utilsE35device_test_enabled_for_warp_size_vIXT1_EEEvE4typeEPT_S4_
	.globl	_Z18warp_reduce_kernelIfLj64ELj16EENSt9enable_ifIXsr10test_utilsE35device_test_enabled_for_warp_size_vIXT1_EEEvE4typeEPT_S4_
	.p2align	8
	.type	_Z18warp_reduce_kernelIfLj64ELj16EENSt9enable_ifIXsr10test_utilsE35device_test_enabled_for_warp_size_vIXT1_EEEvE4typeEPT_S4_,@function
_Z18warp_reduce_kernelIfLj64ELj16EENSt9enable_ifIXsr10test_utilsE35device_test_enabled_for_warp_size_vIXT1_EEEvE4typeEPT_S4_: ; @_Z18warp_reduce_kernelIfLj64ELj16EENSt9enable_ifIXsr10test_utilsE35device_test_enabled_for_warp_size_vIXT1_EEEvE4typeEPT_S4_
; %bb.0:
	s_clause 0x1
	s_load_b32 s4, s[0:1], 0x1c
	s_load_b128 s[0:3], s[0:1], 0x0
	s_waitcnt lgkmcnt(0)
	s_and_b32 s4, s4, 0xffff
	s_delay_alu instid0(SALU_CYCLE_1) | instskip(SKIP_2) | instid1(VALU_DEP_2)
	v_mad_u64_u32 v[1:2], null, s15, s4, v[0:1]
	v_mov_b32_e32 v2, 0
	v_and_b32_e32 v0, 15, v0
	v_lshlrev_b64 v[2:3], 2, v[1:2]
	s_delay_alu instid0(VALU_DEP_1) | instskip(NEXT) | instid1(VALU_DEP_2)
	v_add_co_u32 v2, vcc_lo, s0, v2
	v_add_co_ci_u32_e32 v3, vcc_lo, s1, v3, vcc_lo
	s_mov_b32 s0, exec_lo
	global_load_b32 v2, v[2:3], off
	v_mbcnt_lo_u32_b32 v3, -1, 0
	s_delay_alu instid0(VALU_DEP_1) | instskip(NEXT) | instid1(VALU_DEP_1)
	v_and_b32_e32 v4, 15, v3
	v_cmp_ne_u32_e32 vcc_lo, 15, v4
	v_add_co_ci_u32_e32 v5, vcc_lo, 0, v3, vcc_lo
	v_cmp_gt_u32_e32 vcc_lo, 14, v4
	s_delay_alu instid0(VALU_DEP_2) | instskip(SKIP_2) | instid1(VALU_DEP_2)
	v_lshlrev_b32_e32 v5, 2, v5
	v_cndmask_b32_e64 v6, 0, 1, vcc_lo
	v_cmp_gt_u32_e32 vcc_lo, 12, v4
	v_lshlrev_b32_e32 v6, 1, v6
	s_delay_alu instid0(VALU_DEP_1)
	v_add_lshl_u32 v6, v6, v3, 2
	s_waitcnt vmcnt(0)
	ds_bpermute_b32 v5, v5, v2
	s_waitcnt lgkmcnt(0)
	v_add_f32_e32 v2, v2, v5
	ds_bpermute_b32 v5, v6, v2
	v_cndmask_b32_e64 v6, 0, 1, vcc_lo
	v_cmp_gt_u32_e32 vcc_lo, 8, v4
	s_delay_alu instid0(VALU_DEP_2) | instskip(SKIP_1) | instid1(VALU_DEP_2)
	v_lshlrev_b32_e32 v6, 2, v6
	v_cndmask_b32_e64 v4, 0, 1, vcc_lo
	v_add_lshl_u32 v6, v6, v3, 2
	s_delay_alu instid0(VALU_DEP_2) | instskip(NEXT) | instid1(VALU_DEP_1)
	v_lshlrev_b32_e32 v4, 3, v4
	v_add_lshl_u32 v3, v4, v3, 2
	s_waitcnt lgkmcnt(0)
	v_add_f32_e32 v2, v2, v5
	ds_bpermute_b32 v5, v6, v2
	s_waitcnt lgkmcnt(0)
	v_add_f32_e32 v2, v2, v5
	ds_bpermute_b32 v3, v3, v2
	v_cmpx_eq_u32_e32 0, v0
	s_cbranch_execz .LBB44_2
; %bb.1:
	v_lshrrev_b32_e32 v0, 2, v1
	s_waitcnt lgkmcnt(0)
	s_delay_alu instid0(VALU_DEP_1)
	v_dual_add_f32 v1, v2, v3 :: v_dual_and_b32 v0, 0x3ffffffc, v0
	global_store_b32 v0, v1, s[2:3]
.LBB44_2:
	s_nop 0
	s_sendmsg sendmsg(MSG_DEALLOC_VGPRS)
	s_endpgm
	.section	.rodata,"a",@progbits
	.p2align	6, 0x0
	.amdhsa_kernel _Z18warp_reduce_kernelIfLj64ELj16EENSt9enable_ifIXsr10test_utilsE35device_test_enabled_for_warp_size_vIXT1_EEEvE4typeEPT_S4_
		.amdhsa_group_segment_fixed_size 0
		.amdhsa_private_segment_fixed_size 0
		.amdhsa_kernarg_size 272
		.amdhsa_user_sgpr_count 15
		.amdhsa_user_sgpr_dispatch_ptr 0
		.amdhsa_user_sgpr_queue_ptr 0
		.amdhsa_user_sgpr_kernarg_segment_ptr 1
		.amdhsa_user_sgpr_dispatch_id 0
		.amdhsa_user_sgpr_private_segment_size 0
		.amdhsa_wavefront_size32 1
		.amdhsa_uses_dynamic_stack 0
		.amdhsa_enable_private_segment 0
		.amdhsa_system_sgpr_workgroup_id_x 1
		.amdhsa_system_sgpr_workgroup_id_y 0
		.amdhsa_system_sgpr_workgroup_id_z 0
		.amdhsa_system_sgpr_workgroup_info 0
		.amdhsa_system_vgpr_workitem_id 0
		.amdhsa_next_free_vgpr 7
		.amdhsa_next_free_sgpr 16
		.amdhsa_reserve_vcc 1
		.amdhsa_float_round_mode_32 0
		.amdhsa_float_round_mode_16_64 0
		.amdhsa_float_denorm_mode_32 3
		.amdhsa_float_denorm_mode_16_64 3
		.amdhsa_dx10_clamp 1
		.amdhsa_ieee_mode 1
		.amdhsa_fp16_overflow 0
		.amdhsa_workgroup_processor_mode 1
		.amdhsa_memory_ordered 1
		.amdhsa_forward_progress 0
		.amdhsa_shared_vgpr_count 0
		.amdhsa_exception_fp_ieee_invalid_op 0
		.amdhsa_exception_fp_denorm_src 0
		.amdhsa_exception_fp_ieee_div_zero 0
		.amdhsa_exception_fp_ieee_overflow 0
		.amdhsa_exception_fp_ieee_underflow 0
		.amdhsa_exception_fp_ieee_inexact 0
		.amdhsa_exception_int_div_zero 0
	.end_amdhsa_kernel
	.section	.text._Z18warp_reduce_kernelIfLj64ELj16EENSt9enable_ifIXsr10test_utilsE35device_test_enabled_for_warp_size_vIXT1_EEEvE4typeEPT_S4_,"axG",@progbits,_Z18warp_reduce_kernelIfLj64ELj16EENSt9enable_ifIXsr10test_utilsE35device_test_enabled_for_warp_size_vIXT1_EEEvE4typeEPT_S4_,comdat
.Lfunc_end44:
	.size	_Z18warp_reduce_kernelIfLj64ELj16EENSt9enable_ifIXsr10test_utilsE35device_test_enabled_for_warp_size_vIXT1_EEEvE4typeEPT_S4_, .Lfunc_end44-_Z18warp_reduce_kernelIfLj64ELj16EENSt9enable_ifIXsr10test_utilsE35device_test_enabled_for_warp_size_vIXT1_EEEvE4typeEPT_S4_
                                        ; -- End function
	.section	.AMDGPU.csdata,"",@progbits
; Kernel info:
; codeLenInByte = 316
; NumSgprs: 18
; NumVgprs: 7
; ScratchSize: 0
; MemoryBound: 0
; FloatMode: 240
; IeeeMode: 1
; LDSByteSize: 0 bytes/workgroup (compile time only)
; SGPRBlocks: 2
; VGPRBlocks: 0
; NumSGPRsForWavesPerEU: 18
; NumVGPRsForWavesPerEU: 7
; Occupancy: 16
; WaveLimiterHint : 0
; COMPUTE_PGM_RSRC2:SCRATCH_EN: 0
; COMPUTE_PGM_RSRC2:USER_SGPR: 15
; COMPUTE_PGM_RSRC2:TRAP_HANDLER: 0
; COMPUTE_PGM_RSRC2:TGID_X_EN: 1
; COMPUTE_PGM_RSRC2:TGID_Y_EN: 0
; COMPUTE_PGM_RSRC2:TGID_Z_EN: 0
; COMPUTE_PGM_RSRC2:TIDIG_COMP_CNT: 0
	.section	.text._Z18warp_reduce_kernelIfLj32ELj8EENSt9enable_ifIXsr10test_utilsE35device_test_enabled_for_warp_size_vIXT1_EEEvE4typeEPT_S4_,"axG",@progbits,_Z18warp_reduce_kernelIfLj32ELj8EENSt9enable_ifIXsr10test_utilsE35device_test_enabled_for_warp_size_vIXT1_EEEvE4typeEPT_S4_,comdat
	.protected	_Z18warp_reduce_kernelIfLj32ELj8EENSt9enable_ifIXsr10test_utilsE35device_test_enabled_for_warp_size_vIXT1_EEEvE4typeEPT_S4_ ; -- Begin function _Z18warp_reduce_kernelIfLj32ELj8EENSt9enable_ifIXsr10test_utilsE35device_test_enabled_for_warp_size_vIXT1_EEEvE4typeEPT_S4_
	.globl	_Z18warp_reduce_kernelIfLj32ELj8EENSt9enable_ifIXsr10test_utilsE35device_test_enabled_for_warp_size_vIXT1_EEEvE4typeEPT_S4_
	.p2align	8
	.type	_Z18warp_reduce_kernelIfLj32ELj8EENSt9enable_ifIXsr10test_utilsE35device_test_enabled_for_warp_size_vIXT1_EEEvE4typeEPT_S4_,@function
_Z18warp_reduce_kernelIfLj32ELj8EENSt9enable_ifIXsr10test_utilsE35device_test_enabled_for_warp_size_vIXT1_EEEvE4typeEPT_S4_: ; @_Z18warp_reduce_kernelIfLj32ELj8EENSt9enable_ifIXsr10test_utilsE35device_test_enabled_for_warp_size_vIXT1_EEEvE4typeEPT_S4_
; %bb.0:
	s_clause 0x1
	s_load_b32 s4, s[0:1], 0x1c
	s_load_b128 s[0:3], s[0:1], 0x0
	s_waitcnt lgkmcnt(0)
	s_and_b32 s4, s4, 0xffff
	s_delay_alu instid0(SALU_CYCLE_1) | instskip(SKIP_2) | instid1(VALU_DEP_2)
	v_mad_u64_u32 v[1:2], null, s15, s4, v[0:1]
	v_mov_b32_e32 v2, 0
	v_and_b32_e32 v0, 7, v0
	v_lshlrev_b64 v[2:3], 2, v[1:2]
	s_delay_alu instid0(VALU_DEP_1) | instskip(NEXT) | instid1(VALU_DEP_2)
	v_add_co_u32 v2, vcc_lo, s0, v2
	v_add_co_ci_u32_e32 v3, vcc_lo, s1, v3, vcc_lo
	s_mov_b32 s0, exec_lo
	global_load_b32 v2, v[2:3], off
	v_mbcnt_lo_u32_b32 v3, -1, 0
	s_delay_alu instid0(VALU_DEP_1) | instskip(NEXT) | instid1(VALU_DEP_1)
	v_and_b32_e32 v4, 7, v3
	v_cmp_ne_u32_e32 vcc_lo, 7, v4
	v_add_co_ci_u32_e32 v5, vcc_lo, 0, v3, vcc_lo
	v_cmp_gt_u32_e32 vcc_lo, 6, v4
	s_delay_alu instid0(VALU_DEP_2) | instskip(SKIP_2) | instid1(VALU_DEP_2)
	v_lshlrev_b32_e32 v5, 2, v5
	v_cndmask_b32_e64 v6, 0, 1, vcc_lo
	v_cmp_gt_u32_e32 vcc_lo, 4, v4
	v_lshlrev_b32_e32 v6, 1, v6
	v_cndmask_b32_e64 v4, 0, 1, vcc_lo
	s_delay_alu instid0(VALU_DEP_2) | instskip(NEXT) | instid1(VALU_DEP_2)
	v_add_lshl_u32 v6, v6, v3, 2
	v_lshlrev_b32_e32 v4, 2, v4
	s_delay_alu instid0(VALU_DEP_1)
	v_add_lshl_u32 v3, v4, v3, 2
	s_waitcnt vmcnt(0)
	ds_bpermute_b32 v5, v5, v2
	s_waitcnt lgkmcnt(0)
	v_add_f32_e32 v2, v2, v5
	ds_bpermute_b32 v5, v6, v2
	s_waitcnt lgkmcnt(0)
	v_add_f32_e32 v2, v2, v5
	ds_bpermute_b32 v3, v3, v2
	v_cmpx_eq_u32_e32 0, v0
	s_cbranch_execz .LBB45_2
; %bb.1:
	v_lshrrev_b32_e32 v0, 1, v1
	s_waitcnt lgkmcnt(0)
	s_delay_alu instid0(VALU_DEP_1)
	v_dual_add_f32 v1, v2, v3 :: v_dual_and_b32 v0, 0x7ffffffc, v0
	global_store_b32 v0, v1, s[2:3]
.LBB45_2:
	s_nop 0
	s_sendmsg sendmsg(MSG_DEALLOC_VGPRS)
	s_endpgm
	.section	.rodata,"a",@progbits
	.p2align	6, 0x0
	.amdhsa_kernel _Z18warp_reduce_kernelIfLj32ELj8EENSt9enable_ifIXsr10test_utilsE35device_test_enabled_for_warp_size_vIXT1_EEEvE4typeEPT_S4_
		.amdhsa_group_segment_fixed_size 0
		.amdhsa_private_segment_fixed_size 0
		.amdhsa_kernarg_size 272
		.amdhsa_user_sgpr_count 15
		.amdhsa_user_sgpr_dispatch_ptr 0
		.amdhsa_user_sgpr_queue_ptr 0
		.amdhsa_user_sgpr_kernarg_segment_ptr 1
		.amdhsa_user_sgpr_dispatch_id 0
		.amdhsa_user_sgpr_private_segment_size 0
		.amdhsa_wavefront_size32 1
		.amdhsa_uses_dynamic_stack 0
		.amdhsa_enable_private_segment 0
		.amdhsa_system_sgpr_workgroup_id_x 1
		.amdhsa_system_sgpr_workgroup_id_y 0
		.amdhsa_system_sgpr_workgroup_id_z 0
		.amdhsa_system_sgpr_workgroup_info 0
		.amdhsa_system_vgpr_workitem_id 0
		.amdhsa_next_free_vgpr 7
		.amdhsa_next_free_sgpr 16
		.amdhsa_reserve_vcc 1
		.amdhsa_float_round_mode_32 0
		.amdhsa_float_round_mode_16_64 0
		.amdhsa_float_denorm_mode_32 3
		.amdhsa_float_denorm_mode_16_64 3
		.amdhsa_dx10_clamp 1
		.amdhsa_ieee_mode 1
		.amdhsa_fp16_overflow 0
		.amdhsa_workgroup_processor_mode 1
		.amdhsa_memory_ordered 1
		.amdhsa_forward_progress 0
		.amdhsa_shared_vgpr_count 0
		.amdhsa_exception_fp_ieee_invalid_op 0
		.amdhsa_exception_fp_denorm_src 0
		.amdhsa_exception_fp_ieee_div_zero 0
		.amdhsa_exception_fp_ieee_overflow 0
		.amdhsa_exception_fp_ieee_underflow 0
		.amdhsa_exception_fp_ieee_inexact 0
		.amdhsa_exception_int_div_zero 0
	.end_amdhsa_kernel
	.section	.text._Z18warp_reduce_kernelIfLj32ELj8EENSt9enable_ifIXsr10test_utilsE35device_test_enabled_for_warp_size_vIXT1_EEEvE4typeEPT_S4_,"axG",@progbits,_Z18warp_reduce_kernelIfLj32ELj8EENSt9enable_ifIXsr10test_utilsE35device_test_enabled_for_warp_size_vIXT1_EEEvE4typeEPT_S4_,comdat
.Lfunc_end45:
	.size	_Z18warp_reduce_kernelIfLj32ELj8EENSt9enable_ifIXsr10test_utilsE35device_test_enabled_for_warp_size_vIXT1_EEEvE4typeEPT_S4_, .Lfunc_end45-_Z18warp_reduce_kernelIfLj32ELj8EENSt9enable_ifIXsr10test_utilsE35device_test_enabled_for_warp_size_vIXT1_EEEvE4typeEPT_S4_
                                        ; -- End function
	.section	.AMDGPU.csdata,"",@progbits
; Kernel info:
; codeLenInByte = 272
; NumSgprs: 18
; NumVgprs: 7
; ScratchSize: 0
; MemoryBound: 0
; FloatMode: 240
; IeeeMode: 1
; LDSByteSize: 0 bytes/workgroup (compile time only)
; SGPRBlocks: 2
; VGPRBlocks: 0
; NumSGPRsForWavesPerEU: 18
; NumVGPRsForWavesPerEU: 7
; Occupancy: 16
; WaveLimiterHint : 0
; COMPUTE_PGM_RSRC2:SCRATCH_EN: 0
; COMPUTE_PGM_RSRC2:USER_SGPR: 15
; COMPUTE_PGM_RSRC2:TRAP_HANDLER: 0
; COMPUTE_PGM_RSRC2:TGID_X_EN: 1
; COMPUTE_PGM_RSRC2:TGID_Y_EN: 0
; COMPUTE_PGM_RSRC2:TGID_Z_EN: 0
; COMPUTE_PGM_RSRC2:TIDIG_COMP_CNT: 0
	.section	.text._Z18warp_reduce_kernelIfLj64ELj8EENSt9enable_ifIXsr10test_utilsE35device_test_enabled_for_warp_size_vIXT1_EEEvE4typeEPT_S4_,"axG",@progbits,_Z18warp_reduce_kernelIfLj64ELj8EENSt9enable_ifIXsr10test_utilsE35device_test_enabled_for_warp_size_vIXT1_EEEvE4typeEPT_S4_,comdat
	.protected	_Z18warp_reduce_kernelIfLj64ELj8EENSt9enable_ifIXsr10test_utilsE35device_test_enabled_for_warp_size_vIXT1_EEEvE4typeEPT_S4_ ; -- Begin function _Z18warp_reduce_kernelIfLj64ELj8EENSt9enable_ifIXsr10test_utilsE35device_test_enabled_for_warp_size_vIXT1_EEEvE4typeEPT_S4_
	.globl	_Z18warp_reduce_kernelIfLj64ELj8EENSt9enable_ifIXsr10test_utilsE35device_test_enabled_for_warp_size_vIXT1_EEEvE4typeEPT_S4_
	.p2align	8
	.type	_Z18warp_reduce_kernelIfLj64ELj8EENSt9enable_ifIXsr10test_utilsE35device_test_enabled_for_warp_size_vIXT1_EEEvE4typeEPT_S4_,@function
_Z18warp_reduce_kernelIfLj64ELj8EENSt9enable_ifIXsr10test_utilsE35device_test_enabled_for_warp_size_vIXT1_EEEvE4typeEPT_S4_: ; @_Z18warp_reduce_kernelIfLj64ELj8EENSt9enable_ifIXsr10test_utilsE35device_test_enabled_for_warp_size_vIXT1_EEEvE4typeEPT_S4_
; %bb.0:
	s_clause 0x1
	s_load_b32 s4, s[0:1], 0x1c
	s_load_b128 s[0:3], s[0:1], 0x0
	s_waitcnt lgkmcnt(0)
	s_and_b32 s4, s4, 0xffff
	s_delay_alu instid0(SALU_CYCLE_1) | instskip(SKIP_2) | instid1(VALU_DEP_2)
	v_mad_u64_u32 v[1:2], null, s15, s4, v[0:1]
	v_mov_b32_e32 v2, 0
	v_and_b32_e32 v0, 7, v0
	v_lshlrev_b64 v[2:3], 2, v[1:2]
	s_delay_alu instid0(VALU_DEP_1) | instskip(NEXT) | instid1(VALU_DEP_2)
	v_add_co_u32 v2, vcc_lo, s0, v2
	v_add_co_ci_u32_e32 v3, vcc_lo, s1, v3, vcc_lo
	s_mov_b32 s0, exec_lo
	global_load_b32 v2, v[2:3], off
	v_mbcnt_lo_u32_b32 v3, -1, 0
	s_delay_alu instid0(VALU_DEP_1) | instskip(NEXT) | instid1(VALU_DEP_1)
	v_and_b32_e32 v4, 7, v3
	v_cmp_ne_u32_e32 vcc_lo, 7, v4
	v_add_co_ci_u32_e32 v5, vcc_lo, 0, v3, vcc_lo
	v_cmp_gt_u32_e32 vcc_lo, 6, v4
	s_delay_alu instid0(VALU_DEP_2) | instskip(SKIP_2) | instid1(VALU_DEP_2)
	v_lshlrev_b32_e32 v5, 2, v5
	v_cndmask_b32_e64 v6, 0, 1, vcc_lo
	v_cmp_gt_u32_e32 vcc_lo, 4, v4
	v_lshlrev_b32_e32 v6, 1, v6
	v_cndmask_b32_e64 v4, 0, 1, vcc_lo
	s_delay_alu instid0(VALU_DEP_2) | instskip(NEXT) | instid1(VALU_DEP_2)
	v_add_lshl_u32 v6, v6, v3, 2
	v_lshlrev_b32_e32 v4, 2, v4
	s_delay_alu instid0(VALU_DEP_1)
	v_add_lshl_u32 v3, v4, v3, 2
	s_waitcnt vmcnt(0)
	ds_bpermute_b32 v5, v5, v2
	s_waitcnt lgkmcnt(0)
	v_add_f32_e32 v2, v2, v5
	ds_bpermute_b32 v5, v6, v2
	s_waitcnt lgkmcnt(0)
	v_add_f32_e32 v2, v2, v5
	ds_bpermute_b32 v3, v3, v2
	v_cmpx_eq_u32_e32 0, v0
	s_cbranch_execz .LBB46_2
; %bb.1:
	v_lshrrev_b32_e32 v0, 1, v1
	s_waitcnt lgkmcnt(0)
	s_delay_alu instid0(VALU_DEP_1)
	v_dual_add_f32 v1, v2, v3 :: v_dual_and_b32 v0, 0x7ffffffc, v0
	global_store_b32 v0, v1, s[2:3]
.LBB46_2:
	s_nop 0
	s_sendmsg sendmsg(MSG_DEALLOC_VGPRS)
	s_endpgm
	.section	.rodata,"a",@progbits
	.p2align	6, 0x0
	.amdhsa_kernel _Z18warp_reduce_kernelIfLj64ELj8EENSt9enable_ifIXsr10test_utilsE35device_test_enabled_for_warp_size_vIXT1_EEEvE4typeEPT_S4_
		.amdhsa_group_segment_fixed_size 0
		.amdhsa_private_segment_fixed_size 0
		.amdhsa_kernarg_size 272
		.amdhsa_user_sgpr_count 15
		.amdhsa_user_sgpr_dispatch_ptr 0
		.amdhsa_user_sgpr_queue_ptr 0
		.amdhsa_user_sgpr_kernarg_segment_ptr 1
		.amdhsa_user_sgpr_dispatch_id 0
		.amdhsa_user_sgpr_private_segment_size 0
		.amdhsa_wavefront_size32 1
		.amdhsa_uses_dynamic_stack 0
		.amdhsa_enable_private_segment 0
		.amdhsa_system_sgpr_workgroup_id_x 1
		.amdhsa_system_sgpr_workgroup_id_y 0
		.amdhsa_system_sgpr_workgroup_id_z 0
		.amdhsa_system_sgpr_workgroup_info 0
		.amdhsa_system_vgpr_workitem_id 0
		.amdhsa_next_free_vgpr 7
		.amdhsa_next_free_sgpr 16
		.amdhsa_reserve_vcc 1
		.amdhsa_float_round_mode_32 0
		.amdhsa_float_round_mode_16_64 0
		.amdhsa_float_denorm_mode_32 3
		.amdhsa_float_denorm_mode_16_64 3
		.amdhsa_dx10_clamp 1
		.amdhsa_ieee_mode 1
		.amdhsa_fp16_overflow 0
		.amdhsa_workgroup_processor_mode 1
		.amdhsa_memory_ordered 1
		.amdhsa_forward_progress 0
		.amdhsa_shared_vgpr_count 0
		.amdhsa_exception_fp_ieee_invalid_op 0
		.amdhsa_exception_fp_denorm_src 0
		.amdhsa_exception_fp_ieee_div_zero 0
		.amdhsa_exception_fp_ieee_overflow 0
		.amdhsa_exception_fp_ieee_underflow 0
		.amdhsa_exception_fp_ieee_inexact 0
		.amdhsa_exception_int_div_zero 0
	.end_amdhsa_kernel
	.section	.text._Z18warp_reduce_kernelIfLj64ELj8EENSt9enable_ifIXsr10test_utilsE35device_test_enabled_for_warp_size_vIXT1_EEEvE4typeEPT_S4_,"axG",@progbits,_Z18warp_reduce_kernelIfLj64ELj8EENSt9enable_ifIXsr10test_utilsE35device_test_enabled_for_warp_size_vIXT1_EEEvE4typeEPT_S4_,comdat
.Lfunc_end46:
	.size	_Z18warp_reduce_kernelIfLj64ELj8EENSt9enable_ifIXsr10test_utilsE35device_test_enabled_for_warp_size_vIXT1_EEEvE4typeEPT_S4_, .Lfunc_end46-_Z18warp_reduce_kernelIfLj64ELj8EENSt9enable_ifIXsr10test_utilsE35device_test_enabled_for_warp_size_vIXT1_EEEvE4typeEPT_S4_
                                        ; -- End function
	.section	.AMDGPU.csdata,"",@progbits
; Kernel info:
; codeLenInByte = 272
; NumSgprs: 18
; NumVgprs: 7
; ScratchSize: 0
; MemoryBound: 0
; FloatMode: 240
; IeeeMode: 1
; LDSByteSize: 0 bytes/workgroup (compile time only)
; SGPRBlocks: 2
; VGPRBlocks: 0
; NumSGPRsForWavesPerEU: 18
; NumVGPRsForWavesPerEU: 7
; Occupancy: 16
; WaveLimiterHint : 0
; COMPUTE_PGM_RSRC2:SCRATCH_EN: 0
; COMPUTE_PGM_RSRC2:USER_SGPR: 15
; COMPUTE_PGM_RSRC2:TRAP_HANDLER: 0
; COMPUTE_PGM_RSRC2:TGID_X_EN: 1
; COMPUTE_PGM_RSRC2:TGID_Y_EN: 0
; COMPUTE_PGM_RSRC2:TGID_Z_EN: 0
; COMPUTE_PGM_RSRC2:TIDIG_COMP_CNT: 0
	.section	.text._Z18warp_reduce_kernelIfLj32ELj4EENSt9enable_ifIXsr10test_utilsE35device_test_enabled_for_warp_size_vIXT1_EEEvE4typeEPT_S4_,"axG",@progbits,_Z18warp_reduce_kernelIfLj32ELj4EENSt9enable_ifIXsr10test_utilsE35device_test_enabled_for_warp_size_vIXT1_EEEvE4typeEPT_S4_,comdat
	.protected	_Z18warp_reduce_kernelIfLj32ELj4EENSt9enable_ifIXsr10test_utilsE35device_test_enabled_for_warp_size_vIXT1_EEEvE4typeEPT_S4_ ; -- Begin function _Z18warp_reduce_kernelIfLj32ELj4EENSt9enable_ifIXsr10test_utilsE35device_test_enabled_for_warp_size_vIXT1_EEEvE4typeEPT_S4_
	.globl	_Z18warp_reduce_kernelIfLj32ELj4EENSt9enable_ifIXsr10test_utilsE35device_test_enabled_for_warp_size_vIXT1_EEEvE4typeEPT_S4_
	.p2align	8
	.type	_Z18warp_reduce_kernelIfLj32ELj4EENSt9enable_ifIXsr10test_utilsE35device_test_enabled_for_warp_size_vIXT1_EEEvE4typeEPT_S4_,@function
_Z18warp_reduce_kernelIfLj32ELj4EENSt9enable_ifIXsr10test_utilsE35device_test_enabled_for_warp_size_vIXT1_EEEvE4typeEPT_S4_: ; @_Z18warp_reduce_kernelIfLj32ELj4EENSt9enable_ifIXsr10test_utilsE35device_test_enabled_for_warp_size_vIXT1_EEEvE4typeEPT_S4_
; %bb.0:
	s_clause 0x1
	s_load_b32 s4, s[0:1], 0x1c
	s_load_b128 s[0:3], s[0:1], 0x0
	s_waitcnt lgkmcnt(0)
	s_and_b32 s4, s4, 0xffff
	s_delay_alu instid0(SALU_CYCLE_1) | instskip(SKIP_2) | instid1(VALU_DEP_2)
	v_mad_u64_u32 v[1:2], null, s15, s4, v[0:1]
	v_mov_b32_e32 v2, 0
	v_and_b32_e32 v0, 3, v0
	v_lshlrev_b64 v[2:3], 2, v[1:2]
	s_delay_alu instid0(VALU_DEP_1) | instskip(NEXT) | instid1(VALU_DEP_2)
	v_add_co_u32 v2, vcc_lo, s0, v2
	v_add_co_ci_u32_e32 v3, vcc_lo, s1, v3, vcc_lo
	s_mov_b32 s0, exec_lo
	global_load_b32 v2, v[2:3], off
	v_mbcnt_lo_u32_b32 v3, -1, 0
	s_delay_alu instid0(VALU_DEP_1) | instskip(NEXT) | instid1(VALU_DEP_1)
	v_and_b32_e32 v4, 3, v3
	v_cmp_ne_u32_e32 vcc_lo, 3, v4
	v_add_co_ci_u32_e32 v5, vcc_lo, 0, v3, vcc_lo
	v_cmp_gt_u32_e32 vcc_lo, 2, v4
	s_delay_alu instid0(VALU_DEP_2) | instskip(SKIP_1) | instid1(VALU_DEP_1)
	v_lshlrev_b32_e32 v5, 2, v5
	v_cndmask_b32_e64 v4, 0, 1, vcc_lo
	v_lshlrev_b32_e32 v4, 1, v4
	s_delay_alu instid0(VALU_DEP_1)
	v_add_lshl_u32 v3, v4, v3, 2
	s_waitcnt vmcnt(0)
	ds_bpermute_b32 v5, v5, v2
	s_waitcnt lgkmcnt(0)
	v_add_f32_e32 v2, v2, v5
	ds_bpermute_b32 v3, v3, v2
	v_cmpx_eq_u32_e32 0, v0
	s_cbranch_execz .LBB47_2
; %bb.1:
	s_waitcnt lgkmcnt(0)
	v_dual_add_f32 v1, v2, v3 :: v_dual_and_b32 v0, -4, v1
	global_store_b32 v0, v1, s[2:3]
.LBB47_2:
	s_nop 0
	s_sendmsg sendmsg(MSG_DEALLOC_VGPRS)
	s_endpgm
	.section	.rodata,"a",@progbits
	.p2align	6, 0x0
	.amdhsa_kernel _Z18warp_reduce_kernelIfLj32ELj4EENSt9enable_ifIXsr10test_utilsE35device_test_enabled_for_warp_size_vIXT1_EEEvE4typeEPT_S4_
		.amdhsa_group_segment_fixed_size 0
		.amdhsa_private_segment_fixed_size 0
		.amdhsa_kernarg_size 272
		.amdhsa_user_sgpr_count 15
		.amdhsa_user_sgpr_dispatch_ptr 0
		.amdhsa_user_sgpr_queue_ptr 0
		.amdhsa_user_sgpr_kernarg_segment_ptr 1
		.amdhsa_user_sgpr_dispatch_id 0
		.amdhsa_user_sgpr_private_segment_size 0
		.amdhsa_wavefront_size32 1
		.amdhsa_uses_dynamic_stack 0
		.amdhsa_enable_private_segment 0
		.amdhsa_system_sgpr_workgroup_id_x 1
		.amdhsa_system_sgpr_workgroup_id_y 0
		.amdhsa_system_sgpr_workgroup_id_z 0
		.amdhsa_system_sgpr_workgroup_info 0
		.amdhsa_system_vgpr_workitem_id 0
		.amdhsa_next_free_vgpr 6
		.amdhsa_next_free_sgpr 16
		.amdhsa_reserve_vcc 1
		.amdhsa_float_round_mode_32 0
		.amdhsa_float_round_mode_16_64 0
		.amdhsa_float_denorm_mode_32 3
		.amdhsa_float_denorm_mode_16_64 3
		.amdhsa_dx10_clamp 1
		.amdhsa_ieee_mode 1
		.amdhsa_fp16_overflow 0
		.amdhsa_workgroup_processor_mode 1
		.amdhsa_memory_ordered 1
		.amdhsa_forward_progress 0
		.amdhsa_shared_vgpr_count 0
		.amdhsa_exception_fp_ieee_invalid_op 0
		.amdhsa_exception_fp_denorm_src 0
		.amdhsa_exception_fp_ieee_div_zero 0
		.amdhsa_exception_fp_ieee_overflow 0
		.amdhsa_exception_fp_ieee_underflow 0
		.amdhsa_exception_fp_ieee_inexact 0
		.amdhsa_exception_int_div_zero 0
	.end_amdhsa_kernel
	.section	.text._Z18warp_reduce_kernelIfLj32ELj4EENSt9enable_ifIXsr10test_utilsE35device_test_enabled_for_warp_size_vIXT1_EEEvE4typeEPT_S4_,"axG",@progbits,_Z18warp_reduce_kernelIfLj32ELj4EENSt9enable_ifIXsr10test_utilsE35device_test_enabled_for_warp_size_vIXT1_EEEvE4typeEPT_S4_,comdat
.Lfunc_end47:
	.size	_Z18warp_reduce_kernelIfLj32ELj4EENSt9enable_ifIXsr10test_utilsE35device_test_enabled_for_warp_size_vIXT1_EEEvE4typeEPT_S4_, .Lfunc_end47-_Z18warp_reduce_kernelIfLj32ELj4EENSt9enable_ifIXsr10test_utilsE35device_test_enabled_for_warp_size_vIXT1_EEEvE4typeEPT_S4_
                                        ; -- End function
	.section	.AMDGPU.csdata,"",@progbits
; Kernel info:
; codeLenInByte = 216
; NumSgprs: 18
; NumVgprs: 6
; ScratchSize: 0
; MemoryBound: 0
; FloatMode: 240
; IeeeMode: 1
; LDSByteSize: 0 bytes/workgroup (compile time only)
; SGPRBlocks: 2
; VGPRBlocks: 0
; NumSGPRsForWavesPerEU: 18
; NumVGPRsForWavesPerEU: 6
; Occupancy: 16
; WaveLimiterHint : 0
; COMPUTE_PGM_RSRC2:SCRATCH_EN: 0
; COMPUTE_PGM_RSRC2:USER_SGPR: 15
; COMPUTE_PGM_RSRC2:TRAP_HANDLER: 0
; COMPUTE_PGM_RSRC2:TGID_X_EN: 1
; COMPUTE_PGM_RSRC2:TGID_Y_EN: 0
; COMPUTE_PGM_RSRC2:TGID_Z_EN: 0
; COMPUTE_PGM_RSRC2:TIDIG_COMP_CNT: 0
	.section	.text._Z18warp_reduce_kernelIfLj64ELj4EENSt9enable_ifIXsr10test_utilsE35device_test_enabled_for_warp_size_vIXT1_EEEvE4typeEPT_S4_,"axG",@progbits,_Z18warp_reduce_kernelIfLj64ELj4EENSt9enable_ifIXsr10test_utilsE35device_test_enabled_for_warp_size_vIXT1_EEEvE4typeEPT_S4_,comdat
	.protected	_Z18warp_reduce_kernelIfLj64ELj4EENSt9enable_ifIXsr10test_utilsE35device_test_enabled_for_warp_size_vIXT1_EEEvE4typeEPT_S4_ ; -- Begin function _Z18warp_reduce_kernelIfLj64ELj4EENSt9enable_ifIXsr10test_utilsE35device_test_enabled_for_warp_size_vIXT1_EEEvE4typeEPT_S4_
	.globl	_Z18warp_reduce_kernelIfLj64ELj4EENSt9enable_ifIXsr10test_utilsE35device_test_enabled_for_warp_size_vIXT1_EEEvE4typeEPT_S4_
	.p2align	8
	.type	_Z18warp_reduce_kernelIfLj64ELj4EENSt9enable_ifIXsr10test_utilsE35device_test_enabled_for_warp_size_vIXT1_EEEvE4typeEPT_S4_,@function
_Z18warp_reduce_kernelIfLj64ELj4EENSt9enable_ifIXsr10test_utilsE35device_test_enabled_for_warp_size_vIXT1_EEEvE4typeEPT_S4_: ; @_Z18warp_reduce_kernelIfLj64ELj4EENSt9enable_ifIXsr10test_utilsE35device_test_enabled_for_warp_size_vIXT1_EEEvE4typeEPT_S4_
; %bb.0:
	s_clause 0x1
	s_load_b32 s4, s[0:1], 0x1c
	s_load_b128 s[0:3], s[0:1], 0x0
	s_waitcnt lgkmcnt(0)
	s_and_b32 s4, s4, 0xffff
	s_delay_alu instid0(SALU_CYCLE_1) | instskip(SKIP_2) | instid1(VALU_DEP_2)
	v_mad_u64_u32 v[1:2], null, s15, s4, v[0:1]
	v_mov_b32_e32 v2, 0
	v_and_b32_e32 v0, 3, v0
	v_lshlrev_b64 v[2:3], 2, v[1:2]
	s_delay_alu instid0(VALU_DEP_1) | instskip(NEXT) | instid1(VALU_DEP_2)
	v_add_co_u32 v2, vcc_lo, s0, v2
	v_add_co_ci_u32_e32 v3, vcc_lo, s1, v3, vcc_lo
	s_mov_b32 s0, exec_lo
	global_load_b32 v2, v[2:3], off
	v_mbcnt_lo_u32_b32 v3, -1, 0
	s_delay_alu instid0(VALU_DEP_1) | instskip(NEXT) | instid1(VALU_DEP_1)
	v_and_b32_e32 v4, 3, v3
	v_cmp_ne_u32_e32 vcc_lo, 3, v4
	v_add_co_ci_u32_e32 v5, vcc_lo, 0, v3, vcc_lo
	v_cmp_gt_u32_e32 vcc_lo, 2, v4
	s_delay_alu instid0(VALU_DEP_2) | instskip(SKIP_1) | instid1(VALU_DEP_1)
	v_lshlrev_b32_e32 v5, 2, v5
	v_cndmask_b32_e64 v4, 0, 1, vcc_lo
	v_lshlrev_b32_e32 v4, 1, v4
	s_delay_alu instid0(VALU_DEP_1)
	v_add_lshl_u32 v3, v4, v3, 2
	s_waitcnt vmcnt(0)
	ds_bpermute_b32 v5, v5, v2
	s_waitcnt lgkmcnt(0)
	v_add_f32_e32 v2, v2, v5
	ds_bpermute_b32 v3, v3, v2
	v_cmpx_eq_u32_e32 0, v0
	s_cbranch_execz .LBB48_2
; %bb.1:
	s_waitcnt lgkmcnt(0)
	v_dual_add_f32 v1, v2, v3 :: v_dual_and_b32 v0, -4, v1
	global_store_b32 v0, v1, s[2:3]
.LBB48_2:
	s_nop 0
	s_sendmsg sendmsg(MSG_DEALLOC_VGPRS)
	s_endpgm
	.section	.rodata,"a",@progbits
	.p2align	6, 0x0
	.amdhsa_kernel _Z18warp_reduce_kernelIfLj64ELj4EENSt9enable_ifIXsr10test_utilsE35device_test_enabled_for_warp_size_vIXT1_EEEvE4typeEPT_S4_
		.amdhsa_group_segment_fixed_size 0
		.amdhsa_private_segment_fixed_size 0
		.amdhsa_kernarg_size 272
		.amdhsa_user_sgpr_count 15
		.amdhsa_user_sgpr_dispatch_ptr 0
		.amdhsa_user_sgpr_queue_ptr 0
		.amdhsa_user_sgpr_kernarg_segment_ptr 1
		.amdhsa_user_sgpr_dispatch_id 0
		.amdhsa_user_sgpr_private_segment_size 0
		.amdhsa_wavefront_size32 1
		.amdhsa_uses_dynamic_stack 0
		.amdhsa_enable_private_segment 0
		.amdhsa_system_sgpr_workgroup_id_x 1
		.amdhsa_system_sgpr_workgroup_id_y 0
		.amdhsa_system_sgpr_workgroup_id_z 0
		.amdhsa_system_sgpr_workgroup_info 0
		.amdhsa_system_vgpr_workitem_id 0
		.amdhsa_next_free_vgpr 6
		.amdhsa_next_free_sgpr 16
		.amdhsa_reserve_vcc 1
		.amdhsa_float_round_mode_32 0
		.amdhsa_float_round_mode_16_64 0
		.amdhsa_float_denorm_mode_32 3
		.amdhsa_float_denorm_mode_16_64 3
		.amdhsa_dx10_clamp 1
		.amdhsa_ieee_mode 1
		.amdhsa_fp16_overflow 0
		.amdhsa_workgroup_processor_mode 1
		.amdhsa_memory_ordered 1
		.amdhsa_forward_progress 0
		.amdhsa_shared_vgpr_count 0
		.amdhsa_exception_fp_ieee_invalid_op 0
		.amdhsa_exception_fp_denorm_src 0
		.amdhsa_exception_fp_ieee_div_zero 0
		.amdhsa_exception_fp_ieee_overflow 0
		.amdhsa_exception_fp_ieee_underflow 0
		.amdhsa_exception_fp_ieee_inexact 0
		.amdhsa_exception_int_div_zero 0
	.end_amdhsa_kernel
	.section	.text._Z18warp_reduce_kernelIfLj64ELj4EENSt9enable_ifIXsr10test_utilsE35device_test_enabled_for_warp_size_vIXT1_EEEvE4typeEPT_S4_,"axG",@progbits,_Z18warp_reduce_kernelIfLj64ELj4EENSt9enable_ifIXsr10test_utilsE35device_test_enabled_for_warp_size_vIXT1_EEEvE4typeEPT_S4_,comdat
.Lfunc_end48:
	.size	_Z18warp_reduce_kernelIfLj64ELj4EENSt9enable_ifIXsr10test_utilsE35device_test_enabled_for_warp_size_vIXT1_EEEvE4typeEPT_S4_, .Lfunc_end48-_Z18warp_reduce_kernelIfLj64ELj4EENSt9enable_ifIXsr10test_utilsE35device_test_enabled_for_warp_size_vIXT1_EEEvE4typeEPT_S4_
                                        ; -- End function
	.section	.AMDGPU.csdata,"",@progbits
; Kernel info:
; codeLenInByte = 216
; NumSgprs: 18
; NumVgprs: 6
; ScratchSize: 0
; MemoryBound: 0
; FloatMode: 240
; IeeeMode: 1
; LDSByteSize: 0 bytes/workgroup (compile time only)
; SGPRBlocks: 2
; VGPRBlocks: 0
; NumSGPRsForWavesPerEU: 18
; NumVGPRsForWavesPerEU: 6
; Occupancy: 16
; WaveLimiterHint : 0
; COMPUTE_PGM_RSRC2:SCRATCH_EN: 0
; COMPUTE_PGM_RSRC2:USER_SGPR: 15
; COMPUTE_PGM_RSRC2:TRAP_HANDLER: 0
; COMPUTE_PGM_RSRC2:TGID_X_EN: 1
; COMPUTE_PGM_RSRC2:TGID_Y_EN: 0
; COMPUTE_PGM_RSRC2:TGID_Z_EN: 0
; COMPUTE_PGM_RSRC2:TIDIG_COMP_CNT: 0
	.section	.text._Z18warp_reduce_kernelIfLj32ELj2EENSt9enable_ifIXsr10test_utilsE35device_test_enabled_for_warp_size_vIXT1_EEEvE4typeEPT_S4_,"axG",@progbits,_Z18warp_reduce_kernelIfLj32ELj2EENSt9enable_ifIXsr10test_utilsE35device_test_enabled_for_warp_size_vIXT1_EEEvE4typeEPT_S4_,comdat
	.protected	_Z18warp_reduce_kernelIfLj32ELj2EENSt9enable_ifIXsr10test_utilsE35device_test_enabled_for_warp_size_vIXT1_EEEvE4typeEPT_S4_ ; -- Begin function _Z18warp_reduce_kernelIfLj32ELj2EENSt9enable_ifIXsr10test_utilsE35device_test_enabled_for_warp_size_vIXT1_EEEvE4typeEPT_S4_
	.globl	_Z18warp_reduce_kernelIfLj32ELj2EENSt9enable_ifIXsr10test_utilsE35device_test_enabled_for_warp_size_vIXT1_EEEvE4typeEPT_S4_
	.p2align	8
	.type	_Z18warp_reduce_kernelIfLj32ELj2EENSt9enable_ifIXsr10test_utilsE35device_test_enabled_for_warp_size_vIXT1_EEEvE4typeEPT_S4_,@function
_Z18warp_reduce_kernelIfLj32ELj2EENSt9enable_ifIXsr10test_utilsE35device_test_enabled_for_warp_size_vIXT1_EEEvE4typeEPT_S4_: ; @_Z18warp_reduce_kernelIfLj32ELj2EENSt9enable_ifIXsr10test_utilsE35device_test_enabled_for_warp_size_vIXT1_EEEvE4typeEPT_S4_
; %bb.0:
	s_clause 0x1
	s_load_b32 s4, s[0:1], 0x1c
	s_load_b128 s[0:3], s[0:1], 0x0
	s_waitcnt lgkmcnt(0)
	s_and_b32 s4, s4, 0xffff
	s_delay_alu instid0(SALU_CYCLE_1) | instskip(SKIP_2) | instid1(VALU_DEP_2)
	v_mad_u64_u32 v[1:2], null, s15, s4, v[0:1]
	v_mov_b32_e32 v2, 0
	v_and_b32_e32 v0, 1, v0
	v_lshlrev_b64 v[3:4], 2, v[1:2]
	s_delay_alu instid0(VALU_DEP_1) | instskip(NEXT) | instid1(VALU_DEP_2)
	v_add_co_u32 v3, vcc_lo, s0, v3
	v_add_co_ci_u32_e32 v4, vcc_lo, s1, v4, vcc_lo
	s_mov_b32 s0, exec_lo
	global_load_b32 v3, v[3:4], off
	v_mbcnt_lo_u32_b32 v4, -1, 0
	s_delay_alu instid0(VALU_DEP_1)
	v_lshl_or_b32 v4, v4, 2, 4
	s_waitcnt vmcnt(0)
	ds_bpermute_b32 v4, v4, v3
	v_cmpx_eq_u32_e32 0, v0
	s_cbranch_execz .LBB49_2
; %bb.1:
	v_lshrrev_b32_e32 v1, 1, v1
	s_delay_alu instid0(VALU_DEP_1) | instskip(SKIP_2) | instid1(VALU_DEP_2)
	v_lshlrev_b64 v[0:1], 2, v[1:2]
	s_waitcnt lgkmcnt(0)
	v_add_f32_e32 v2, v3, v4
	v_add_co_u32 v0, vcc_lo, s2, v0
	s_delay_alu instid0(VALU_DEP_3)
	v_add_co_ci_u32_e32 v1, vcc_lo, s3, v1, vcc_lo
	global_store_b32 v[0:1], v2, off
.LBB49_2:
	s_nop 0
	s_sendmsg sendmsg(MSG_DEALLOC_VGPRS)
	s_endpgm
	.section	.rodata,"a",@progbits
	.p2align	6, 0x0
	.amdhsa_kernel _Z18warp_reduce_kernelIfLj32ELj2EENSt9enable_ifIXsr10test_utilsE35device_test_enabled_for_warp_size_vIXT1_EEEvE4typeEPT_S4_
		.amdhsa_group_segment_fixed_size 0
		.amdhsa_private_segment_fixed_size 0
		.amdhsa_kernarg_size 272
		.amdhsa_user_sgpr_count 15
		.amdhsa_user_sgpr_dispatch_ptr 0
		.amdhsa_user_sgpr_queue_ptr 0
		.amdhsa_user_sgpr_kernarg_segment_ptr 1
		.amdhsa_user_sgpr_dispatch_id 0
		.amdhsa_user_sgpr_private_segment_size 0
		.amdhsa_wavefront_size32 1
		.amdhsa_uses_dynamic_stack 0
		.amdhsa_enable_private_segment 0
		.amdhsa_system_sgpr_workgroup_id_x 1
		.amdhsa_system_sgpr_workgroup_id_y 0
		.amdhsa_system_sgpr_workgroup_id_z 0
		.amdhsa_system_sgpr_workgroup_info 0
		.amdhsa_system_vgpr_workitem_id 0
		.amdhsa_next_free_vgpr 5
		.amdhsa_next_free_sgpr 16
		.amdhsa_reserve_vcc 1
		.amdhsa_float_round_mode_32 0
		.amdhsa_float_round_mode_16_64 0
		.amdhsa_float_denorm_mode_32 3
		.amdhsa_float_denorm_mode_16_64 3
		.amdhsa_dx10_clamp 1
		.amdhsa_ieee_mode 1
		.amdhsa_fp16_overflow 0
		.amdhsa_workgroup_processor_mode 1
		.amdhsa_memory_ordered 1
		.amdhsa_forward_progress 0
		.amdhsa_shared_vgpr_count 0
		.amdhsa_exception_fp_ieee_invalid_op 0
		.amdhsa_exception_fp_denorm_src 0
		.amdhsa_exception_fp_ieee_div_zero 0
		.amdhsa_exception_fp_ieee_overflow 0
		.amdhsa_exception_fp_ieee_underflow 0
		.amdhsa_exception_fp_ieee_inexact 0
		.amdhsa_exception_int_div_zero 0
	.end_amdhsa_kernel
	.section	.text._Z18warp_reduce_kernelIfLj32ELj2EENSt9enable_ifIXsr10test_utilsE35device_test_enabled_for_warp_size_vIXT1_EEEvE4typeEPT_S4_,"axG",@progbits,_Z18warp_reduce_kernelIfLj32ELj2EENSt9enable_ifIXsr10test_utilsE35device_test_enabled_for_warp_size_vIXT1_EEEvE4typeEPT_S4_,comdat
.Lfunc_end49:
	.size	_Z18warp_reduce_kernelIfLj32ELj2EENSt9enable_ifIXsr10test_utilsE35device_test_enabled_for_warp_size_vIXT1_EEEvE4typeEPT_S4_, .Lfunc_end49-_Z18warp_reduce_kernelIfLj32ELj2EENSt9enable_ifIXsr10test_utilsE35device_test_enabled_for_warp_size_vIXT1_EEEvE4typeEPT_S4_
                                        ; -- End function
	.section	.AMDGPU.csdata,"",@progbits
; Kernel info:
; codeLenInByte = 188
; NumSgprs: 18
; NumVgprs: 5
; ScratchSize: 0
; MemoryBound: 0
; FloatMode: 240
; IeeeMode: 1
; LDSByteSize: 0 bytes/workgroup (compile time only)
; SGPRBlocks: 2
; VGPRBlocks: 0
; NumSGPRsForWavesPerEU: 18
; NumVGPRsForWavesPerEU: 5
; Occupancy: 16
; WaveLimiterHint : 0
; COMPUTE_PGM_RSRC2:SCRATCH_EN: 0
; COMPUTE_PGM_RSRC2:USER_SGPR: 15
; COMPUTE_PGM_RSRC2:TRAP_HANDLER: 0
; COMPUTE_PGM_RSRC2:TGID_X_EN: 1
; COMPUTE_PGM_RSRC2:TGID_Y_EN: 0
; COMPUTE_PGM_RSRC2:TGID_Z_EN: 0
; COMPUTE_PGM_RSRC2:TIDIG_COMP_CNT: 0
	.section	.text._Z18warp_reduce_kernelIfLj64ELj2EENSt9enable_ifIXsr10test_utilsE35device_test_enabled_for_warp_size_vIXT1_EEEvE4typeEPT_S4_,"axG",@progbits,_Z18warp_reduce_kernelIfLj64ELj2EENSt9enable_ifIXsr10test_utilsE35device_test_enabled_for_warp_size_vIXT1_EEEvE4typeEPT_S4_,comdat
	.protected	_Z18warp_reduce_kernelIfLj64ELj2EENSt9enable_ifIXsr10test_utilsE35device_test_enabled_for_warp_size_vIXT1_EEEvE4typeEPT_S4_ ; -- Begin function _Z18warp_reduce_kernelIfLj64ELj2EENSt9enable_ifIXsr10test_utilsE35device_test_enabled_for_warp_size_vIXT1_EEEvE4typeEPT_S4_
	.globl	_Z18warp_reduce_kernelIfLj64ELj2EENSt9enable_ifIXsr10test_utilsE35device_test_enabled_for_warp_size_vIXT1_EEEvE4typeEPT_S4_
	.p2align	8
	.type	_Z18warp_reduce_kernelIfLj64ELj2EENSt9enable_ifIXsr10test_utilsE35device_test_enabled_for_warp_size_vIXT1_EEEvE4typeEPT_S4_,@function
_Z18warp_reduce_kernelIfLj64ELj2EENSt9enable_ifIXsr10test_utilsE35device_test_enabled_for_warp_size_vIXT1_EEEvE4typeEPT_S4_: ; @_Z18warp_reduce_kernelIfLj64ELj2EENSt9enable_ifIXsr10test_utilsE35device_test_enabled_for_warp_size_vIXT1_EEEvE4typeEPT_S4_
; %bb.0:
	s_clause 0x1
	s_load_b32 s4, s[0:1], 0x1c
	s_load_b128 s[0:3], s[0:1], 0x0
	s_waitcnt lgkmcnt(0)
	s_and_b32 s4, s4, 0xffff
	s_delay_alu instid0(SALU_CYCLE_1) | instskip(SKIP_2) | instid1(VALU_DEP_2)
	v_mad_u64_u32 v[1:2], null, s15, s4, v[0:1]
	v_mov_b32_e32 v2, 0
	v_and_b32_e32 v0, 1, v0
	v_lshlrev_b64 v[3:4], 2, v[1:2]
	s_delay_alu instid0(VALU_DEP_1) | instskip(NEXT) | instid1(VALU_DEP_2)
	v_add_co_u32 v3, vcc_lo, s0, v3
	v_add_co_ci_u32_e32 v4, vcc_lo, s1, v4, vcc_lo
	s_mov_b32 s0, exec_lo
	global_load_b32 v3, v[3:4], off
	v_mbcnt_lo_u32_b32 v4, -1, 0
	s_delay_alu instid0(VALU_DEP_1)
	v_lshl_or_b32 v4, v4, 2, 4
	s_waitcnt vmcnt(0)
	ds_bpermute_b32 v4, v4, v3
	v_cmpx_eq_u32_e32 0, v0
	s_cbranch_execz .LBB50_2
; %bb.1:
	v_lshrrev_b32_e32 v1, 1, v1
	s_delay_alu instid0(VALU_DEP_1) | instskip(SKIP_2) | instid1(VALU_DEP_2)
	v_lshlrev_b64 v[0:1], 2, v[1:2]
	s_waitcnt lgkmcnt(0)
	v_add_f32_e32 v2, v3, v4
	v_add_co_u32 v0, vcc_lo, s2, v0
	s_delay_alu instid0(VALU_DEP_3)
	v_add_co_ci_u32_e32 v1, vcc_lo, s3, v1, vcc_lo
	global_store_b32 v[0:1], v2, off
.LBB50_2:
	s_nop 0
	s_sendmsg sendmsg(MSG_DEALLOC_VGPRS)
	s_endpgm
	.section	.rodata,"a",@progbits
	.p2align	6, 0x0
	.amdhsa_kernel _Z18warp_reduce_kernelIfLj64ELj2EENSt9enable_ifIXsr10test_utilsE35device_test_enabled_for_warp_size_vIXT1_EEEvE4typeEPT_S4_
		.amdhsa_group_segment_fixed_size 0
		.amdhsa_private_segment_fixed_size 0
		.amdhsa_kernarg_size 272
		.amdhsa_user_sgpr_count 15
		.amdhsa_user_sgpr_dispatch_ptr 0
		.amdhsa_user_sgpr_queue_ptr 0
		.amdhsa_user_sgpr_kernarg_segment_ptr 1
		.amdhsa_user_sgpr_dispatch_id 0
		.amdhsa_user_sgpr_private_segment_size 0
		.amdhsa_wavefront_size32 1
		.amdhsa_uses_dynamic_stack 0
		.amdhsa_enable_private_segment 0
		.amdhsa_system_sgpr_workgroup_id_x 1
		.amdhsa_system_sgpr_workgroup_id_y 0
		.amdhsa_system_sgpr_workgroup_id_z 0
		.amdhsa_system_sgpr_workgroup_info 0
		.amdhsa_system_vgpr_workitem_id 0
		.amdhsa_next_free_vgpr 5
		.amdhsa_next_free_sgpr 16
		.amdhsa_reserve_vcc 1
		.amdhsa_float_round_mode_32 0
		.amdhsa_float_round_mode_16_64 0
		.amdhsa_float_denorm_mode_32 3
		.amdhsa_float_denorm_mode_16_64 3
		.amdhsa_dx10_clamp 1
		.amdhsa_ieee_mode 1
		.amdhsa_fp16_overflow 0
		.amdhsa_workgroup_processor_mode 1
		.amdhsa_memory_ordered 1
		.amdhsa_forward_progress 0
		.amdhsa_shared_vgpr_count 0
		.amdhsa_exception_fp_ieee_invalid_op 0
		.amdhsa_exception_fp_denorm_src 0
		.amdhsa_exception_fp_ieee_div_zero 0
		.amdhsa_exception_fp_ieee_overflow 0
		.amdhsa_exception_fp_ieee_underflow 0
		.amdhsa_exception_fp_ieee_inexact 0
		.amdhsa_exception_int_div_zero 0
	.end_amdhsa_kernel
	.section	.text._Z18warp_reduce_kernelIfLj64ELj2EENSt9enable_ifIXsr10test_utilsE35device_test_enabled_for_warp_size_vIXT1_EEEvE4typeEPT_S4_,"axG",@progbits,_Z18warp_reduce_kernelIfLj64ELj2EENSt9enable_ifIXsr10test_utilsE35device_test_enabled_for_warp_size_vIXT1_EEEvE4typeEPT_S4_,comdat
.Lfunc_end50:
	.size	_Z18warp_reduce_kernelIfLj64ELj2EENSt9enable_ifIXsr10test_utilsE35device_test_enabled_for_warp_size_vIXT1_EEEvE4typeEPT_S4_, .Lfunc_end50-_Z18warp_reduce_kernelIfLj64ELj2EENSt9enable_ifIXsr10test_utilsE35device_test_enabled_for_warp_size_vIXT1_EEEvE4typeEPT_S4_
                                        ; -- End function
	.section	.AMDGPU.csdata,"",@progbits
; Kernel info:
; codeLenInByte = 188
; NumSgprs: 18
; NumVgprs: 5
; ScratchSize: 0
; MemoryBound: 0
; FloatMode: 240
; IeeeMode: 1
; LDSByteSize: 0 bytes/workgroup (compile time only)
; SGPRBlocks: 2
; VGPRBlocks: 0
; NumSGPRsForWavesPerEU: 18
; NumVGPRsForWavesPerEU: 5
; Occupancy: 16
; WaveLimiterHint : 0
; COMPUTE_PGM_RSRC2:SCRATCH_EN: 0
; COMPUTE_PGM_RSRC2:USER_SGPR: 15
; COMPUTE_PGM_RSRC2:TRAP_HANDLER: 0
; COMPUTE_PGM_RSRC2:TGID_X_EN: 1
; COMPUTE_PGM_RSRC2:TGID_Y_EN: 0
; COMPUTE_PGM_RSRC2:TGID_Z_EN: 0
; COMPUTE_PGM_RSRC2:TIDIG_COMP_CNT: 0
	.section	.text._Z18warp_reduce_kernelIfLj32ELj1EENSt9enable_ifIXsr10test_utilsE35device_test_enabled_for_warp_size_vIXT1_EEEvE4typeEPT_S4_,"axG",@progbits,_Z18warp_reduce_kernelIfLj32ELj1EENSt9enable_ifIXsr10test_utilsE35device_test_enabled_for_warp_size_vIXT1_EEEvE4typeEPT_S4_,comdat
	.protected	_Z18warp_reduce_kernelIfLj32ELj1EENSt9enable_ifIXsr10test_utilsE35device_test_enabled_for_warp_size_vIXT1_EEEvE4typeEPT_S4_ ; -- Begin function _Z18warp_reduce_kernelIfLj32ELj1EENSt9enable_ifIXsr10test_utilsE35device_test_enabled_for_warp_size_vIXT1_EEEvE4typeEPT_S4_
	.globl	_Z18warp_reduce_kernelIfLj32ELj1EENSt9enable_ifIXsr10test_utilsE35device_test_enabled_for_warp_size_vIXT1_EEEvE4typeEPT_S4_
	.p2align	8
	.type	_Z18warp_reduce_kernelIfLj32ELj1EENSt9enable_ifIXsr10test_utilsE35device_test_enabled_for_warp_size_vIXT1_EEEvE4typeEPT_S4_,@function
_Z18warp_reduce_kernelIfLj32ELj1EENSt9enable_ifIXsr10test_utilsE35device_test_enabled_for_warp_size_vIXT1_EEEvE4typeEPT_S4_: ; @_Z18warp_reduce_kernelIfLj32ELj1EENSt9enable_ifIXsr10test_utilsE35device_test_enabled_for_warp_size_vIXT1_EEEvE4typeEPT_S4_
; %bb.0:
	s_clause 0x1
	s_load_b32 s4, s[0:1], 0x1c
	s_load_b128 s[0:3], s[0:1], 0x0
	s_waitcnt lgkmcnt(0)
	s_and_b32 s4, s4, 0xffff
	s_delay_alu instid0(SALU_CYCLE_1) | instskip(SKIP_1) | instid1(VALU_DEP_1)
	v_mad_u64_u32 v[1:2], null, s15, s4, v[0:1]
	v_mov_b32_e32 v2, 0
	v_lshlrev_b64 v[0:1], 2, v[1:2]
	s_delay_alu instid0(VALU_DEP_1) | instskip(NEXT) | instid1(VALU_DEP_2)
	v_add_co_u32 v2, vcc_lo, s0, v0
	v_add_co_ci_u32_e32 v3, vcc_lo, s1, v1, vcc_lo
	v_add_co_u32 v0, vcc_lo, s2, v0
	v_add_co_ci_u32_e32 v1, vcc_lo, s3, v1, vcc_lo
	global_load_b32 v2, v[2:3], off
	s_waitcnt vmcnt(0)
	global_store_b32 v[0:1], v2, off
	s_nop 0
	s_sendmsg sendmsg(MSG_DEALLOC_VGPRS)
	s_endpgm
	.section	.rodata,"a",@progbits
	.p2align	6, 0x0
	.amdhsa_kernel _Z18warp_reduce_kernelIfLj32ELj1EENSt9enable_ifIXsr10test_utilsE35device_test_enabled_for_warp_size_vIXT1_EEEvE4typeEPT_S4_
		.amdhsa_group_segment_fixed_size 0
		.amdhsa_private_segment_fixed_size 0
		.amdhsa_kernarg_size 272
		.amdhsa_user_sgpr_count 15
		.amdhsa_user_sgpr_dispatch_ptr 0
		.amdhsa_user_sgpr_queue_ptr 0
		.amdhsa_user_sgpr_kernarg_segment_ptr 1
		.amdhsa_user_sgpr_dispatch_id 0
		.amdhsa_user_sgpr_private_segment_size 0
		.amdhsa_wavefront_size32 1
		.amdhsa_uses_dynamic_stack 0
		.amdhsa_enable_private_segment 0
		.amdhsa_system_sgpr_workgroup_id_x 1
		.amdhsa_system_sgpr_workgroup_id_y 0
		.amdhsa_system_sgpr_workgroup_id_z 0
		.amdhsa_system_sgpr_workgroup_info 0
		.amdhsa_system_vgpr_workitem_id 0
		.amdhsa_next_free_vgpr 4
		.amdhsa_next_free_sgpr 16
		.amdhsa_reserve_vcc 1
		.amdhsa_float_round_mode_32 0
		.amdhsa_float_round_mode_16_64 0
		.amdhsa_float_denorm_mode_32 3
		.amdhsa_float_denorm_mode_16_64 3
		.amdhsa_dx10_clamp 1
		.amdhsa_ieee_mode 1
		.amdhsa_fp16_overflow 0
		.amdhsa_workgroup_processor_mode 1
		.amdhsa_memory_ordered 1
		.amdhsa_forward_progress 0
		.amdhsa_shared_vgpr_count 0
		.amdhsa_exception_fp_ieee_invalid_op 0
		.amdhsa_exception_fp_denorm_src 0
		.amdhsa_exception_fp_ieee_div_zero 0
		.amdhsa_exception_fp_ieee_overflow 0
		.amdhsa_exception_fp_ieee_underflow 0
		.amdhsa_exception_fp_ieee_inexact 0
		.amdhsa_exception_int_div_zero 0
	.end_amdhsa_kernel
	.section	.text._Z18warp_reduce_kernelIfLj32ELj1EENSt9enable_ifIXsr10test_utilsE35device_test_enabled_for_warp_size_vIXT1_EEEvE4typeEPT_S4_,"axG",@progbits,_Z18warp_reduce_kernelIfLj32ELj1EENSt9enable_ifIXsr10test_utilsE35device_test_enabled_for_warp_size_vIXT1_EEEvE4typeEPT_S4_,comdat
.Lfunc_end51:
	.size	_Z18warp_reduce_kernelIfLj32ELj1EENSt9enable_ifIXsr10test_utilsE35device_test_enabled_for_warp_size_vIXT1_EEEvE4typeEPT_S4_, .Lfunc_end51-_Z18warp_reduce_kernelIfLj32ELj1EENSt9enable_ifIXsr10test_utilsE35device_test_enabled_for_warp_size_vIXT1_EEEvE4typeEPT_S4_
                                        ; -- End function
	.section	.AMDGPU.csdata,"",@progbits
; Kernel info:
; codeLenInByte = 116
; NumSgprs: 18
; NumVgprs: 4
; ScratchSize: 0
; MemoryBound: 0
; FloatMode: 240
; IeeeMode: 1
; LDSByteSize: 0 bytes/workgroup (compile time only)
; SGPRBlocks: 2
; VGPRBlocks: 0
; NumSGPRsForWavesPerEU: 18
; NumVGPRsForWavesPerEU: 4
; Occupancy: 16
; WaveLimiterHint : 0
; COMPUTE_PGM_RSRC2:SCRATCH_EN: 0
; COMPUTE_PGM_RSRC2:USER_SGPR: 15
; COMPUTE_PGM_RSRC2:TRAP_HANDLER: 0
; COMPUTE_PGM_RSRC2:TGID_X_EN: 1
; COMPUTE_PGM_RSRC2:TGID_Y_EN: 0
; COMPUTE_PGM_RSRC2:TGID_Z_EN: 0
; COMPUTE_PGM_RSRC2:TIDIG_COMP_CNT: 0
	.section	.text._Z18warp_reduce_kernelIfLj64ELj1EENSt9enable_ifIXsr10test_utilsE35device_test_enabled_for_warp_size_vIXT1_EEEvE4typeEPT_S4_,"axG",@progbits,_Z18warp_reduce_kernelIfLj64ELj1EENSt9enable_ifIXsr10test_utilsE35device_test_enabled_for_warp_size_vIXT1_EEEvE4typeEPT_S4_,comdat
	.protected	_Z18warp_reduce_kernelIfLj64ELj1EENSt9enable_ifIXsr10test_utilsE35device_test_enabled_for_warp_size_vIXT1_EEEvE4typeEPT_S4_ ; -- Begin function _Z18warp_reduce_kernelIfLj64ELj1EENSt9enable_ifIXsr10test_utilsE35device_test_enabled_for_warp_size_vIXT1_EEEvE4typeEPT_S4_
	.globl	_Z18warp_reduce_kernelIfLj64ELj1EENSt9enable_ifIXsr10test_utilsE35device_test_enabled_for_warp_size_vIXT1_EEEvE4typeEPT_S4_
	.p2align	8
	.type	_Z18warp_reduce_kernelIfLj64ELj1EENSt9enable_ifIXsr10test_utilsE35device_test_enabled_for_warp_size_vIXT1_EEEvE4typeEPT_S4_,@function
_Z18warp_reduce_kernelIfLj64ELj1EENSt9enable_ifIXsr10test_utilsE35device_test_enabled_for_warp_size_vIXT1_EEEvE4typeEPT_S4_: ; @_Z18warp_reduce_kernelIfLj64ELj1EENSt9enable_ifIXsr10test_utilsE35device_test_enabled_for_warp_size_vIXT1_EEEvE4typeEPT_S4_
; %bb.0:
	s_clause 0x1
	s_load_b32 s4, s[0:1], 0x1c
	s_load_b128 s[0:3], s[0:1], 0x0
	s_waitcnt lgkmcnt(0)
	s_and_b32 s4, s4, 0xffff
	s_delay_alu instid0(SALU_CYCLE_1) | instskip(SKIP_1) | instid1(VALU_DEP_1)
	v_mad_u64_u32 v[1:2], null, s15, s4, v[0:1]
	v_mov_b32_e32 v2, 0
	v_lshlrev_b64 v[0:1], 2, v[1:2]
	s_delay_alu instid0(VALU_DEP_1) | instskip(NEXT) | instid1(VALU_DEP_2)
	v_add_co_u32 v2, vcc_lo, s0, v0
	v_add_co_ci_u32_e32 v3, vcc_lo, s1, v1, vcc_lo
	v_add_co_u32 v0, vcc_lo, s2, v0
	v_add_co_ci_u32_e32 v1, vcc_lo, s3, v1, vcc_lo
	global_load_b32 v2, v[2:3], off
	s_waitcnt vmcnt(0)
	global_store_b32 v[0:1], v2, off
	s_nop 0
	s_sendmsg sendmsg(MSG_DEALLOC_VGPRS)
	s_endpgm
	.section	.rodata,"a",@progbits
	.p2align	6, 0x0
	.amdhsa_kernel _Z18warp_reduce_kernelIfLj64ELj1EENSt9enable_ifIXsr10test_utilsE35device_test_enabled_for_warp_size_vIXT1_EEEvE4typeEPT_S4_
		.amdhsa_group_segment_fixed_size 0
		.amdhsa_private_segment_fixed_size 0
		.amdhsa_kernarg_size 272
		.amdhsa_user_sgpr_count 15
		.amdhsa_user_sgpr_dispatch_ptr 0
		.amdhsa_user_sgpr_queue_ptr 0
		.amdhsa_user_sgpr_kernarg_segment_ptr 1
		.amdhsa_user_sgpr_dispatch_id 0
		.amdhsa_user_sgpr_private_segment_size 0
		.amdhsa_wavefront_size32 1
		.amdhsa_uses_dynamic_stack 0
		.amdhsa_enable_private_segment 0
		.amdhsa_system_sgpr_workgroup_id_x 1
		.amdhsa_system_sgpr_workgroup_id_y 0
		.amdhsa_system_sgpr_workgroup_id_z 0
		.amdhsa_system_sgpr_workgroup_info 0
		.amdhsa_system_vgpr_workitem_id 0
		.amdhsa_next_free_vgpr 4
		.amdhsa_next_free_sgpr 16
		.amdhsa_reserve_vcc 1
		.amdhsa_float_round_mode_32 0
		.amdhsa_float_round_mode_16_64 0
		.amdhsa_float_denorm_mode_32 3
		.amdhsa_float_denorm_mode_16_64 3
		.amdhsa_dx10_clamp 1
		.amdhsa_ieee_mode 1
		.amdhsa_fp16_overflow 0
		.amdhsa_workgroup_processor_mode 1
		.amdhsa_memory_ordered 1
		.amdhsa_forward_progress 0
		.amdhsa_shared_vgpr_count 0
		.amdhsa_exception_fp_ieee_invalid_op 0
		.amdhsa_exception_fp_denorm_src 0
		.amdhsa_exception_fp_ieee_div_zero 0
		.amdhsa_exception_fp_ieee_overflow 0
		.amdhsa_exception_fp_ieee_underflow 0
		.amdhsa_exception_fp_ieee_inexact 0
		.amdhsa_exception_int_div_zero 0
	.end_amdhsa_kernel
	.section	.text._Z18warp_reduce_kernelIfLj64ELj1EENSt9enable_ifIXsr10test_utilsE35device_test_enabled_for_warp_size_vIXT1_EEEvE4typeEPT_S4_,"axG",@progbits,_Z18warp_reduce_kernelIfLj64ELj1EENSt9enable_ifIXsr10test_utilsE35device_test_enabled_for_warp_size_vIXT1_EEEvE4typeEPT_S4_,comdat
.Lfunc_end52:
	.size	_Z18warp_reduce_kernelIfLj64ELj1EENSt9enable_ifIXsr10test_utilsE35device_test_enabled_for_warp_size_vIXT1_EEEvE4typeEPT_S4_, .Lfunc_end52-_Z18warp_reduce_kernelIfLj64ELj1EENSt9enable_ifIXsr10test_utilsE35device_test_enabled_for_warp_size_vIXT1_EEEvE4typeEPT_S4_
                                        ; -- End function
	.section	.AMDGPU.csdata,"",@progbits
; Kernel info:
; codeLenInByte = 116
; NumSgprs: 18
; NumVgprs: 4
; ScratchSize: 0
; MemoryBound: 0
; FloatMode: 240
; IeeeMode: 1
; LDSByteSize: 0 bytes/workgroup (compile time only)
; SGPRBlocks: 2
; VGPRBlocks: 0
; NumSGPRsForWavesPerEU: 18
; NumVGPRsForWavesPerEU: 4
; Occupancy: 16
; WaveLimiterHint : 0
; COMPUTE_PGM_RSRC2:SCRATCH_EN: 0
; COMPUTE_PGM_RSRC2:USER_SGPR: 15
; COMPUTE_PGM_RSRC2:TRAP_HANDLER: 0
; COMPUTE_PGM_RSRC2:TGID_X_EN: 1
; COMPUTE_PGM_RSRC2:TGID_Y_EN: 0
; COMPUTE_PGM_RSRC2:TGID_Z_EN: 0
; COMPUTE_PGM_RSRC2:TIDIG_COMP_CNT: 0
	.section	.text._Z18warp_reduce_kernelIiLj256ELj64EENSt9enable_ifIXntsr10test_utilsE35device_test_enabled_for_warp_size_vIXT1_EEEvE4typeEPT_S4_,"axG",@progbits,_Z18warp_reduce_kernelIiLj256ELj64EENSt9enable_ifIXntsr10test_utilsE35device_test_enabled_for_warp_size_vIXT1_EEEvE4typeEPT_S4_,comdat
	.protected	_Z18warp_reduce_kernelIiLj256ELj64EENSt9enable_ifIXntsr10test_utilsE35device_test_enabled_for_warp_size_vIXT1_EEEvE4typeEPT_S4_ ; -- Begin function _Z18warp_reduce_kernelIiLj256ELj64EENSt9enable_ifIXntsr10test_utilsE35device_test_enabled_for_warp_size_vIXT1_EEEvE4typeEPT_S4_
	.globl	_Z18warp_reduce_kernelIiLj256ELj64EENSt9enable_ifIXntsr10test_utilsE35device_test_enabled_for_warp_size_vIXT1_EEEvE4typeEPT_S4_
	.p2align	8
	.type	_Z18warp_reduce_kernelIiLj256ELj64EENSt9enable_ifIXntsr10test_utilsE35device_test_enabled_for_warp_size_vIXT1_EEEvE4typeEPT_S4_,@function
_Z18warp_reduce_kernelIiLj256ELj64EENSt9enable_ifIXntsr10test_utilsE35device_test_enabled_for_warp_size_vIXT1_EEEvE4typeEPT_S4_: ; @_Z18warp_reduce_kernelIiLj256ELj64EENSt9enable_ifIXntsr10test_utilsE35device_test_enabled_for_warp_size_vIXT1_EEEvE4typeEPT_S4_
; %bb.0:
	s_endpgm
	.section	.rodata,"a",@progbits
	.p2align	6, 0x0
	.amdhsa_kernel _Z18warp_reduce_kernelIiLj256ELj64EENSt9enable_ifIXntsr10test_utilsE35device_test_enabled_for_warp_size_vIXT1_EEEvE4typeEPT_S4_
		.amdhsa_group_segment_fixed_size 0
		.amdhsa_private_segment_fixed_size 0
		.amdhsa_kernarg_size 16
		.amdhsa_user_sgpr_count 15
		.amdhsa_user_sgpr_dispatch_ptr 0
		.amdhsa_user_sgpr_queue_ptr 0
		.amdhsa_user_sgpr_kernarg_segment_ptr 1
		.amdhsa_user_sgpr_dispatch_id 0
		.amdhsa_user_sgpr_private_segment_size 0
		.amdhsa_wavefront_size32 1
		.amdhsa_uses_dynamic_stack 0
		.amdhsa_enable_private_segment 0
		.amdhsa_system_sgpr_workgroup_id_x 1
		.amdhsa_system_sgpr_workgroup_id_y 0
		.amdhsa_system_sgpr_workgroup_id_z 0
		.amdhsa_system_sgpr_workgroup_info 0
		.amdhsa_system_vgpr_workitem_id 0
		.amdhsa_next_free_vgpr 1
		.amdhsa_next_free_sgpr 1
		.amdhsa_reserve_vcc 0
		.amdhsa_float_round_mode_32 0
		.amdhsa_float_round_mode_16_64 0
		.amdhsa_float_denorm_mode_32 3
		.amdhsa_float_denorm_mode_16_64 3
		.amdhsa_dx10_clamp 1
		.amdhsa_ieee_mode 1
		.amdhsa_fp16_overflow 0
		.amdhsa_workgroup_processor_mode 1
		.amdhsa_memory_ordered 1
		.amdhsa_forward_progress 0
		.amdhsa_shared_vgpr_count 0
		.amdhsa_exception_fp_ieee_invalid_op 0
		.amdhsa_exception_fp_denorm_src 0
		.amdhsa_exception_fp_ieee_div_zero 0
		.amdhsa_exception_fp_ieee_overflow 0
		.amdhsa_exception_fp_ieee_underflow 0
		.amdhsa_exception_fp_ieee_inexact 0
		.amdhsa_exception_int_div_zero 0
	.end_amdhsa_kernel
	.section	.text._Z18warp_reduce_kernelIiLj256ELj64EENSt9enable_ifIXntsr10test_utilsE35device_test_enabled_for_warp_size_vIXT1_EEEvE4typeEPT_S4_,"axG",@progbits,_Z18warp_reduce_kernelIiLj256ELj64EENSt9enable_ifIXntsr10test_utilsE35device_test_enabled_for_warp_size_vIXT1_EEEvE4typeEPT_S4_,comdat
.Lfunc_end53:
	.size	_Z18warp_reduce_kernelIiLj256ELj64EENSt9enable_ifIXntsr10test_utilsE35device_test_enabled_for_warp_size_vIXT1_EEEvE4typeEPT_S4_, .Lfunc_end53-_Z18warp_reduce_kernelIiLj256ELj64EENSt9enable_ifIXntsr10test_utilsE35device_test_enabled_for_warp_size_vIXT1_EEEvE4typeEPT_S4_
                                        ; -- End function
	.section	.AMDGPU.csdata,"",@progbits
; Kernel info:
; codeLenInByte = 4
; NumSgprs: 0
; NumVgprs: 0
; ScratchSize: 0
; MemoryBound: 0
; FloatMode: 240
; IeeeMode: 1
; LDSByteSize: 0 bytes/workgroup (compile time only)
; SGPRBlocks: 0
; VGPRBlocks: 0
; NumSGPRsForWavesPerEU: 1
; NumVGPRsForWavesPerEU: 1
; Occupancy: 16
; WaveLimiterHint : 0
; COMPUTE_PGM_RSRC2:SCRATCH_EN: 0
; COMPUTE_PGM_RSRC2:USER_SGPR: 15
; COMPUTE_PGM_RSRC2:TRAP_HANDLER: 0
; COMPUTE_PGM_RSRC2:TGID_X_EN: 1
; COMPUTE_PGM_RSRC2:TGID_Y_EN: 0
; COMPUTE_PGM_RSRC2:TGID_Z_EN: 0
; COMPUTE_PGM_RSRC2:TIDIG_COMP_CNT: 0
	.section	.text._Z18warp_reduce_kernelIiLj128ELj32EENSt9enable_ifIXsr10test_utilsE35device_test_enabled_for_warp_size_vIXT1_EEEvE4typeEPT_S4_,"axG",@progbits,_Z18warp_reduce_kernelIiLj128ELj32EENSt9enable_ifIXsr10test_utilsE35device_test_enabled_for_warp_size_vIXT1_EEEvE4typeEPT_S4_,comdat
	.protected	_Z18warp_reduce_kernelIiLj128ELj32EENSt9enable_ifIXsr10test_utilsE35device_test_enabled_for_warp_size_vIXT1_EEEvE4typeEPT_S4_ ; -- Begin function _Z18warp_reduce_kernelIiLj128ELj32EENSt9enable_ifIXsr10test_utilsE35device_test_enabled_for_warp_size_vIXT1_EEEvE4typeEPT_S4_
	.globl	_Z18warp_reduce_kernelIiLj128ELj32EENSt9enable_ifIXsr10test_utilsE35device_test_enabled_for_warp_size_vIXT1_EEEvE4typeEPT_S4_
	.p2align	8
	.type	_Z18warp_reduce_kernelIiLj128ELj32EENSt9enable_ifIXsr10test_utilsE35device_test_enabled_for_warp_size_vIXT1_EEEvE4typeEPT_S4_,@function
_Z18warp_reduce_kernelIiLj128ELj32EENSt9enable_ifIXsr10test_utilsE35device_test_enabled_for_warp_size_vIXT1_EEEvE4typeEPT_S4_: ; @_Z18warp_reduce_kernelIiLj128ELj32EENSt9enable_ifIXsr10test_utilsE35device_test_enabled_for_warp_size_vIXT1_EEEvE4typeEPT_S4_
; %bb.0:
	s_clause 0x1
	s_load_b32 s4, s[0:1], 0x1c
	s_load_b128 s[0:3], s[0:1], 0x0
	s_waitcnt lgkmcnt(0)
	s_and_b32 s4, s4, 0xffff
	s_delay_alu instid0(SALU_CYCLE_1) | instskip(SKIP_2) | instid1(VALU_DEP_2)
	v_mad_u64_u32 v[1:2], null, s15, s4, v[0:1]
	v_mov_b32_e32 v2, 0
	v_and_b32_e32 v0, 31, v0
	v_lshlrev_b64 v[3:4], 2, v[1:2]
	s_delay_alu instid0(VALU_DEP_1) | instskip(NEXT) | instid1(VALU_DEP_2)
	v_add_co_u32 v3, vcc_lo, s0, v3
	v_add_co_ci_u32_e32 v4, vcc_lo, s1, v4, vcc_lo
	s_mov_b32 s0, exec_lo
	global_load_b32 v3, v[3:4], off
	s_waitcnt vmcnt(0)
	v_mov_b32_dpp v4, v3 quad_perm:[1,0,3,2] row_mask:0xf bank_mask:0xf
	s_delay_alu instid0(VALU_DEP_1) | instskip(NEXT) | instid1(VALU_DEP_1)
	v_add_nc_u32_e32 v3, v4, v3
	v_mov_b32_dpp v4, v3 quad_perm:[2,3,0,1] row_mask:0xf bank_mask:0xf
	s_delay_alu instid0(VALU_DEP_1) | instskip(NEXT) | instid1(VALU_DEP_1)
	v_add_nc_u32_e32 v3, v3, v4
	v_mov_b32_dpp v4, v3 row_ror:4 row_mask:0xf bank_mask:0xf
	s_delay_alu instid0(VALU_DEP_1) | instskip(NEXT) | instid1(VALU_DEP_1)
	v_add_nc_u32_e32 v3, v3, v4
	v_mov_b32_dpp v4, v3 row_ror:8 row_mask:0xf bank_mask:0xf
	s_delay_alu instid0(VALU_DEP_1)
	v_add_nc_u32_e32 v3, v3, v4
	ds_swizzle_b32 v4, v3 offset:swizzle(BROADCAST,32,15)
	s_waitcnt lgkmcnt(0)
	v_add_nc_u32_e32 v3, v3, v4
	ds_bpermute_b32 v2, v2, v3 offset:124
	v_cmpx_eq_u32_e32 0, v0
	s_cbranch_execz .LBB54_2
; %bb.1:
	v_lshrrev_b32_e32 v0, 3, v1
	s_delay_alu instid0(VALU_DEP_1)
	v_and_b32_e32 v0, 0x1ffffffc, v0
	s_waitcnt lgkmcnt(0)
	global_store_b32 v0, v2, s[2:3]
.LBB54_2:
	s_nop 0
	s_sendmsg sendmsg(MSG_DEALLOC_VGPRS)
	s_endpgm
	.section	.rodata,"a",@progbits
	.p2align	6, 0x0
	.amdhsa_kernel _Z18warp_reduce_kernelIiLj128ELj32EENSt9enable_ifIXsr10test_utilsE35device_test_enabled_for_warp_size_vIXT1_EEEvE4typeEPT_S4_
		.amdhsa_group_segment_fixed_size 0
		.amdhsa_private_segment_fixed_size 0
		.amdhsa_kernarg_size 272
		.amdhsa_user_sgpr_count 15
		.amdhsa_user_sgpr_dispatch_ptr 0
		.amdhsa_user_sgpr_queue_ptr 0
		.amdhsa_user_sgpr_kernarg_segment_ptr 1
		.amdhsa_user_sgpr_dispatch_id 0
		.amdhsa_user_sgpr_private_segment_size 0
		.amdhsa_wavefront_size32 1
		.amdhsa_uses_dynamic_stack 0
		.amdhsa_enable_private_segment 0
		.amdhsa_system_sgpr_workgroup_id_x 1
		.amdhsa_system_sgpr_workgroup_id_y 0
		.amdhsa_system_sgpr_workgroup_id_z 0
		.amdhsa_system_sgpr_workgroup_info 0
		.amdhsa_system_vgpr_workitem_id 0
		.amdhsa_next_free_vgpr 5
		.amdhsa_next_free_sgpr 16
		.amdhsa_reserve_vcc 1
		.amdhsa_float_round_mode_32 0
		.amdhsa_float_round_mode_16_64 0
		.amdhsa_float_denorm_mode_32 3
		.amdhsa_float_denorm_mode_16_64 3
		.amdhsa_dx10_clamp 1
		.amdhsa_ieee_mode 1
		.amdhsa_fp16_overflow 0
		.amdhsa_workgroup_processor_mode 1
		.amdhsa_memory_ordered 1
		.amdhsa_forward_progress 0
		.amdhsa_shared_vgpr_count 0
		.amdhsa_exception_fp_ieee_invalid_op 0
		.amdhsa_exception_fp_denorm_src 0
		.amdhsa_exception_fp_ieee_div_zero 0
		.amdhsa_exception_fp_ieee_overflow 0
		.amdhsa_exception_fp_ieee_underflow 0
		.amdhsa_exception_fp_ieee_inexact 0
		.amdhsa_exception_int_div_zero 0
	.end_amdhsa_kernel
	.section	.text._Z18warp_reduce_kernelIiLj128ELj32EENSt9enable_ifIXsr10test_utilsE35device_test_enabled_for_warp_size_vIXT1_EEEvE4typeEPT_S4_,"axG",@progbits,_Z18warp_reduce_kernelIiLj128ELj32EENSt9enable_ifIXsr10test_utilsE35device_test_enabled_for_warp_size_vIXT1_EEEvE4typeEPT_S4_,comdat
.Lfunc_end54:
	.size	_Z18warp_reduce_kernelIiLj128ELj32EENSt9enable_ifIXsr10test_utilsE35device_test_enabled_for_warp_size_vIXT1_EEEvE4typeEPT_S4_, .Lfunc_end54-_Z18warp_reduce_kernelIiLj128ELj32EENSt9enable_ifIXsr10test_utilsE35device_test_enabled_for_warp_size_vIXT1_EEEvE4typeEPT_S4_
                                        ; -- End function
	.section	.AMDGPU.csdata,"",@progbits
; Kernel info:
; codeLenInByte = 228
; NumSgprs: 18
; NumVgprs: 5
; ScratchSize: 0
; MemoryBound: 0
; FloatMode: 240
; IeeeMode: 1
; LDSByteSize: 0 bytes/workgroup (compile time only)
; SGPRBlocks: 2
; VGPRBlocks: 0
; NumSGPRsForWavesPerEU: 18
; NumVGPRsForWavesPerEU: 5
; Occupancy: 16
; WaveLimiterHint : 0
; COMPUTE_PGM_RSRC2:SCRATCH_EN: 0
; COMPUTE_PGM_RSRC2:USER_SGPR: 15
; COMPUTE_PGM_RSRC2:TRAP_HANDLER: 0
; COMPUTE_PGM_RSRC2:TGID_X_EN: 1
; COMPUTE_PGM_RSRC2:TGID_Y_EN: 0
; COMPUTE_PGM_RSRC2:TGID_Z_EN: 0
; COMPUTE_PGM_RSRC2:TIDIG_COMP_CNT: 0
	.section	.text._Z18warp_reduce_kernelIiLj64ELj16EENSt9enable_ifIXsr10test_utilsE35device_test_enabled_for_warp_size_vIXT1_EEEvE4typeEPT_S4_,"axG",@progbits,_Z18warp_reduce_kernelIiLj64ELj16EENSt9enable_ifIXsr10test_utilsE35device_test_enabled_for_warp_size_vIXT1_EEEvE4typeEPT_S4_,comdat
	.protected	_Z18warp_reduce_kernelIiLj64ELj16EENSt9enable_ifIXsr10test_utilsE35device_test_enabled_for_warp_size_vIXT1_EEEvE4typeEPT_S4_ ; -- Begin function _Z18warp_reduce_kernelIiLj64ELj16EENSt9enable_ifIXsr10test_utilsE35device_test_enabled_for_warp_size_vIXT1_EEEvE4typeEPT_S4_
	.globl	_Z18warp_reduce_kernelIiLj64ELj16EENSt9enable_ifIXsr10test_utilsE35device_test_enabled_for_warp_size_vIXT1_EEEvE4typeEPT_S4_
	.p2align	8
	.type	_Z18warp_reduce_kernelIiLj64ELj16EENSt9enable_ifIXsr10test_utilsE35device_test_enabled_for_warp_size_vIXT1_EEEvE4typeEPT_S4_,@function
_Z18warp_reduce_kernelIiLj64ELj16EENSt9enable_ifIXsr10test_utilsE35device_test_enabled_for_warp_size_vIXT1_EEEvE4typeEPT_S4_: ; @_Z18warp_reduce_kernelIiLj64ELj16EENSt9enable_ifIXsr10test_utilsE35device_test_enabled_for_warp_size_vIXT1_EEEvE4typeEPT_S4_
; %bb.0:
	s_clause 0x1
	s_load_b32 s4, s[0:1], 0x1c
	s_load_b128 s[0:3], s[0:1], 0x0
	s_waitcnt lgkmcnt(0)
	s_and_b32 s4, s4, 0xffff
	s_delay_alu instid0(SALU_CYCLE_1) | instskip(SKIP_2) | instid1(VALU_DEP_2)
	v_mad_u64_u32 v[1:2], null, s15, s4, v[0:1]
	v_mov_b32_e32 v2, 0
	v_and_b32_e32 v0, 15, v0
	v_lshlrev_b64 v[2:3], 2, v[1:2]
	s_delay_alu instid0(VALU_DEP_1) | instskip(NEXT) | instid1(VALU_DEP_2)
	v_add_co_u32 v2, vcc_lo, s0, v2
	v_add_co_ci_u32_e32 v3, vcc_lo, s1, v3, vcc_lo
	s_mov_b32 s0, exec_lo
	global_load_b32 v2, v[2:3], off
	v_mbcnt_lo_u32_b32 v3, -1, 0
	s_delay_alu instid0(VALU_DEP_1) | instskip(NEXT) | instid1(VALU_DEP_1)
	v_and_b32_e32 v4, 15, v3
	v_cmp_ne_u32_e32 vcc_lo, 15, v4
	v_add_co_ci_u32_e32 v5, vcc_lo, 0, v3, vcc_lo
	v_cmp_gt_u32_e32 vcc_lo, 14, v4
	s_delay_alu instid0(VALU_DEP_2) | instskip(SKIP_2) | instid1(VALU_DEP_2)
	v_lshlrev_b32_e32 v5, 2, v5
	v_cndmask_b32_e64 v6, 0, 1, vcc_lo
	v_cmp_gt_u32_e32 vcc_lo, 12, v4
	v_lshlrev_b32_e32 v6, 1, v6
	s_delay_alu instid0(VALU_DEP_1)
	v_add_lshl_u32 v6, v6, v3, 2
	s_waitcnt vmcnt(0)
	ds_bpermute_b32 v5, v5, v2
	s_waitcnt lgkmcnt(0)
	v_add_nc_u32_e32 v2, v5, v2
	ds_bpermute_b32 v5, v6, v2
	v_cndmask_b32_e64 v6, 0, 1, vcc_lo
	v_cmp_gt_u32_e32 vcc_lo, 8, v4
	s_delay_alu instid0(VALU_DEP_2) | instskip(SKIP_1) | instid1(VALU_DEP_2)
	v_lshlrev_b32_e32 v6, 2, v6
	v_cndmask_b32_e64 v4, 0, 1, vcc_lo
	v_add_lshl_u32 v6, v6, v3, 2
	s_delay_alu instid0(VALU_DEP_2) | instskip(NEXT) | instid1(VALU_DEP_1)
	v_lshlrev_b32_e32 v4, 3, v4
	v_add_lshl_u32 v3, v4, v3, 2
	s_waitcnt lgkmcnt(0)
	v_add_nc_u32_e32 v2, v5, v2
	ds_bpermute_b32 v5, v6, v2
	s_waitcnt lgkmcnt(0)
	v_add_nc_u32_e32 v2, v5, v2
	ds_bpermute_b32 v3, v3, v2
	v_cmpx_eq_u32_e32 0, v0
	s_cbranch_execz .LBB55_2
; %bb.1:
	v_lshrrev_b32_e32 v0, 2, v1
	s_waitcnt lgkmcnt(0)
	v_add_nc_u32_e32 v1, v3, v2
	s_delay_alu instid0(VALU_DEP_2)
	v_and_b32_e32 v0, 0x3ffffffc, v0
	global_store_b32 v0, v1, s[2:3]
.LBB55_2:
	s_nop 0
	s_sendmsg sendmsg(MSG_DEALLOC_VGPRS)
	s_endpgm
	.section	.rodata,"a",@progbits
	.p2align	6, 0x0
	.amdhsa_kernel _Z18warp_reduce_kernelIiLj64ELj16EENSt9enable_ifIXsr10test_utilsE35device_test_enabled_for_warp_size_vIXT1_EEEvE4typeEPT_S4_
		.amdhsa_group_segment_fixed_size 0
		.amdhsa_private_segment_fixed_size 0
		.amdhsa_kernarg_size 272
		.amdhsa_user_sgpr_count 15
		.amdhsa_user_sgpr_dispatch_ptr 0
		.amdhsa_user_sgpr_queue_ptr 0
		.amdhsa_user_sgpr_kernarg_segment_ptr 1
		.amdhsa_user_sgpr_dispatch_id 0
		.amdhsa_user_sgpr_private_segment_size 0
		.amdhsa_wavefront_size32 1
		.amdhsa_uses_dynamic_stack 0
		.amdhsa_enable_private_segment 0
		.amdhsa_system_sgpr_workgroup_id_x 1
		.amdhsa_system_sgpr_workgroup_id_y 0
		.amdhsa_system_sgpr_workgroup_id_z 0
		.amdhsa_system_sgpr_workgroup_info 0
		.amdhsa_system_vgpr_workitem_id 0
		.amdhsa_next_free_vgpr 7
		.amdhsa_next_free_sgpr 16
		.amdhsa_reserve_vcc 1
		.amdhsa_float_round_mode_32 0
		.amdhsa_float_round_mode_16_64 0
		.amdhsa_float_denorm_mode_32 3
		.amdhsa_float_denorm_mode_16_64 3
		.amdhsa_dx10_clamp 1
		.amdhsa_ieee_mode 1
		.amdhsa_fp16_overflow 0
		.amdhsa_workgroup_processor_mode 1
		.amdhsa_memory_ordered 1
		.amdhsa_forward_progress 0
		.amdhsa_shared_vgpr_count 0
		.amdhsa_exception_fp_ieee_invalid_op 0
		.amdhsa_exception_fp_denorm_src 0
		.amdhsa_exception_fp_ieee_div_zero 0
		.amdhsa_exception_fp_ieee_overflow 0
		.amdhsa_exception_fp_ieee_underflow 0
		.amdhsa_exception_fp_ieee_inexact 0
		.amdhsa_exception_int_div_zero 0
	.end_amdhsa_kernel
	.section	.text._Z18warp_reduce_kernelIiLj64ELj16EENSt9enable_ifIXsr10test_utilsE35device_test_enabled_for_warp_size_vIXT1_EEEvE4typeEPT_S4_,"axG",@progbits,_Z18warp_reduce_kernelIiLj64ELj16EENSt9enable_ifIXsr10test_utilsE35device_test_enabled_for_warp_size_vIXT1_EEEvE4typeEPT_S4_,comdat
.Lfunc_end55:
	.size	_Z18warp_reduce_kernelIiLj64ELj16EENSt9enable_ifIXsr10test_utilsE35device_test_enabled_for_warp_size_vIXT1_EEEvE4typeEPT_S4_, .Lfunc_end55-_Z18warp_reduce_kernelIiLj64ELj16EENSt9enable_ifIXsr10test_utilsE35device_test_enabled_for_warp_size_vIXT1_EEEvE4typeEPT_S4_
                                        ; -- End function
	.section	.AMDGPU.csdata,"",@progbits
; Kernel info:
; codeLenInByte = 316
; NumSgprs: 18
; NumVgprs: 7
; ScratchSize: 0
; MemoryBound: 0
; FloatMode: 240
; IeeeMode: 1
; LDSByteSize: 0 bytes/workgroup (compile time only)
; SGPRBlocks: 2
; VGPRBlocks: 0
; NumSGPRsForWavesPerEU: 18
; NumVGPRsForWavesPerEU: 7
; Occupancy: 16
; WaveLimiterHint : 0
; COMPUTE_PGM_RSRC2:SCRATCH_EN: 0
; COMPUTE_PGM_RSRC2:USER_SGPR: 15
; COMPUTE_PGM_RSRC2:TRAP_HANDLER: 0
; COMPUTE_PGM_RSRC2:TGID_X_EN: 1
; COMPUTE_PGM_RSRC2:TGID_Y_EN: 0
; COMPUTE_PGM_RSRC2:TGID_Z_EN: 0
; COMPUTE_PGM_RSRC2:TIDIG_COMP_CNT: 0
	.section	.text._Z18warp_reduce_kernelIiLj32ELj8EENSt9enable_ifIXsr10test_utilsE35device_test_enabled_for_warp_size_vIXT1_EEEvE4typeEPT_S4_,"axG",@progbits,_Z18warp_reduce_kernelIiLj32ELj8EENSt9enable_ifIXsr10test_utilsE35device_test_enabled_for_warp_size_vIXT1_EEEvE4typeEPT_S4_,comdat
	.protected	_Z18warp_reduce_kernelIiLj32ELj8EENSt9enable_ifIXsr10test_utilsE35device_test_enabled_for_warp_size_vIXT1_EEEvE4typeEPT_S4_ ; -- Begin function _Z18warp_reduce_kernelIiLj32ELj8EENSt9enable_ifIXsr10test_utilsE35device_test_enabled_for_warp_size_vIXT1_EEEvE4typeEPT_S4_
	.globl	_Z18warp_reduce_kernelIiLj32ELj8EENSt9enable_ifIXsr10test_utilsE35device_test_enabled_for_warp_size_vIXT1_EEEvE4typeEPT_S4_
	.p2align	8
	.type	_Z18warp_reduce_kernelIiLj32ELj8EENSt9enable_ifIXsr10test_utilsE35device_test_enabled_for_warp_size_vIXT1_EEEvE4typeEPT_S4_,@function
_Z18warp_reduce_kernelIiLj32ELj8EENSt9enable_ifIXsr10test_utilsE35device_test_enabled_for_warp_size_vIXT1_EEEvE4typeEPT_S4_: ; @_Z18warp_reduce_kernelIiLj32ELj8EENSt9enable_ifIXsr10test_utilsE35device_test_enabled_for_warp_size_vIXT1_EEEvE4typeEPT_S4_
; %bb.0:
	s_clause 0x1
	s_load_b32 s4, s[0:1], 0x1c
	s_load_b128 s[0:3], s[0:1], 0x0
	s_waitcnt lgkmcnt(0)
	s_and_b32 s4, s4, 0xffff
	s_delay_alu instid0(SALU_CYCLE_1) | instskip(SKIP_2) | instid1(VALU_DEP_2)
	v_mad_u64_u32 v[1:2], null, s15, s4, v[0:1]
	v_mov_b32_e32 v2, 0
	v_and_b32_e32 v0, 7, v0
	v_lshlrev_b64 v[2:3], 2, v[1:2]
	s_delay_alu instid0(VALU_DEP_1) | instskip(NEXT) | instid1(VALU_DEP_2)
	v_add_co_u32 v2, vcc_lo, s0, v2
	v_add_co_ci_u32_e32 v3, vcc_lo, s1, v3, vcc_lo
	s_mov_b32 s0, exec_lo
	global_load_b32 v2, v[2:3], off
	v_mbcnt_lo_u32_b32 v3, -1, 0
	s_delay_alu instid0(VALU_DEP_1) | instskip(NEXT) | instid1(VALU_DEP_1)
	v_and_b32_e32 v4, 7, v3
	v_cmp_ne_u32_e32 vcc_lo, 7, v4
	v_add_co_ci_u32_e32 v5, vcc_lo, 0, v3, vcc_lo
	v_cmp_gt_u32_e32 vcc_lo, 6, v4
	s_delay_alu instid0(VALU_DEP_2) | instskip(SKIP_2) | instid1(VALU_DEP_2)
	v_lshlrev_b32_e32 v5, 2, v5
	v_cndmask_b32_e64 v6, 0, 1, vcc_lo
	v_cmp_gt_u32_e32 vcc_lo, 4, v4
	v_lshlrev_b32_e32 v6, 1, v6
	v_cndmask_b32_e64 v4, 0, 1, vcc_lo
	s_delay_alu instid0(VALU_DEP_2) | instskip(NEXT) | instid1(VALU_DEP_2)
	v_add_lshl_u32 v6, v6, v3, 2
	v_lshlrev_b32_e32 v4, 2, v4
	s_delay_alu instid0(VALU_DEP_1)
	v_add_lshl_u32 v3, v4, v3, 2
	s_waitcnt vmcnt(0)
	ds_bpermute_b32 v5, v5, v2
	s_waitcnt lgkmcnt(0)
	v_add_nc_u32_e32 v2, v5, v2
	ds_bpermute_b32 v5, v6, v2
	s_waitcnt lgkmcnt(0)
	v_add_nc_u32_e32 v2, v5, v2
	ds_bpermute_b32 v3, v3, v2
	v_cmpx_eq_u32_e32 0, v0
	s_cbranch_execz .LBB56_2
; %bb.1:
	v_lshrrev_b32_e32 v0, 1, v1
	s_waitcnt lgkmcnt(0)
	v_add_nc_u32_e32 v1, v3, v2
	s_delay_alu instid0(VALU_DEP_2)
	v_and_b32_e32 v0, 0x7ffffffc, v0
	global_store_b32 v0, v1, s[2:3]
.LBB56_2:
	s_nop 0
	s_sendmsg sendmsg(MSG_DEALLOC_VGPRS)
	s_endpgm
	.section	.rodata,"a",@progbits
	.p2align	6, 0x0
	.amdhsa_kernel _Z18warp_reduce_kernelIiLj32ELj8EENSt9enable_ifIXsr10test_utilsE35device_test_enabled_for_warp_size_vIXT1_EEEvE4typeEPT_S4_
		.amdhsa_group_segment_fixed_size 0
		.amdhsa_private_segment_fixed_size 0
		.amdhsa_kernarg_size 272
		.amdhsa_user_sgpr_count 15
		.amdhsa_user_sgpr_dispatch_ptr 0
		.amdhsa_user_sgpr_queue_ptr 0
		.amdhsa_user_sgpr_kernarg_segment_ptr 1
		.amdhsa_user_sgpr_dispatch_id 0
		.amdhsa_user_sgpr_private_segment_size 0
		.amdhsa_wavefront_size32 1
		.amdhsa_uses_dynamic_stack 0
		.amdhsa_enable_private_segment 0
		.amdhsa_system_sgpr_workgroup_id_x 1
		.amdhsa_system_sgpr_workgroup_id_y 0
		.amdhsa_system_sgpr_workgroup_id_z 0
		.amdhsa_system_sgpr_workgroup_info 0
		.amdhsa_system_vgpr_workitem_id 0
		.amdhsa_next_free_vgpr 7
		.amdhsa_next_free_sgpr 16
		.amdhsa_reserve_vcc 1
		.amdhsa_float_round_mode_32 0
		.amdhsa_float_round_mode_16_64 0
		.amdhsa_float_denorm_mode_32 3
		.amdhsa_float_denorm_mode_16_64 3
		.amdhsa_dx10_clamp 1
		.amdhsa_ieee_mode 1
		.amdhsa_fp16_overflow 0
		.amdhsa_workgroup_processor_mode 1
		.amdhsa_memory_ordered 1
		.amdhsa_forward_progress 0
		.amdhsa_shared_vgpr_count 0
		.amdhsa_exception_fp_ieee_invalid_op 0
		.amdhsa_exception_fp_denorm_src 0
		.amdhsa_exception_fp_ieee_div_zero 0
		.amdhsa_exception_fp_ieee_overflow 0
		.amdhsa_exception_fp_ieee_underflow 0
		.amdhsa_exception_fp_ieee_inexact 0
		.amdhsa_exception_int_div_zero 0
	.end_amdhsa_kernel
	.section	.text._Z18warp_reduce_kernelIiLj32ELj8EENSt9enable_ifIXsr10test_utilsE35device_test_enabled_for_warp_size_vIXT1_EEEvE4typeEPT_S4_,"axG",@progbits,_Z18warp_reduce_kernelIiLj32ELj8EENSt9enable_ifIXsr10test_utilsE35device_test_enabled_for_warp_size_vIXT1_EEEvE4typeEPT_S4_,comdat
.Lfunc_end56:
	.size	_Z18warp_reduce_kernelIiLj32ELj8EENSt9enable_ifIXsr10test_utilsE35device_test_enabled_for_warp_size_vIXT1_EEEvE4typeEPT_S4_, .Lfunc_end56-_Z18warp_reduce_kernelIiLj32ELj8EENSt9enable_ifIXsr10test_utilsE35device_test_enabled_for_warp_size_vIXT1_EEEvE4typeEPT_S4_
                                        ; -- End function
	.section	.AMDGPU.csdata,"",@progbits
; Kernel info:
; codeLenInByte = 272
; NumSgprs: 18
; NumVgprs: 7
; ScratchSize: 0
; MemoryBound: 0
; FloatMode: 240
; IeeeMode: 1
; LDSByteSize: 0 bytes/workgroup (compile time only)
; SGPRBlocks: 2
; VGPRBlocks: 0
; NumSGPRsForWavesPerEU: 18
; NumVGPRsForWavesPerEU: 7
; Occupancy: 16
; WaveLimiterHint : 0
; COMPUTE_PGM_RSRC2:SCRATCH_EN: 0
; COMPUTE_PGM_RSRC2:USER_SGPR: 15
; COMPUTE_PGM_RSRC2:TRAP_HANDLER: 0
; COMPUTE_PGM_RSRC2:TGID_X_EN: 1
; COMPUTE_PGM_RSRC2:TGID_Y_EN: 0
; COMPUTE_PGM_RSRC2:TGID_Z_EN: 0
; COMPUTE_PGM_RSRC2:TIDIG_COMP_CNT: 0
	.section	.text._Z18warp_reduce_kernelIiLj64ELj8EENSt9enable_ifIXsr10test_utilsE35device_test_enabled_for_warp_size_vIXT1_EEEvE4typeEPT_S4_,"axG",@progbits,_Z18warp_reduce_kernelIiLj64ELj8EENSt9enable_ifIXsr10test_utilsE35device_test_enabled_for_warp_size_vIXT1_EEEvE4typeEPT_S4_,comdat
	.protected	_Z18warp_reduce_kernelIiLj64ELj8EENSt9enable_ifIXsr10test_utilsE35device_test_enabled_for_warp_size_vIXT1_EEEvE4typeEPT_S4_ ; -- Begin function _Z18warp_reduce_kernelIiLj64ELj8EENSt9enable_ifIXsr10test_utilsE35device_test_enabled_for_warp_size_vIXT1_EEEvE4typeEPT_S4_
	.globl	_Z18warp_reduce_kernelIiLj64ELj8EENSt9enable_ifIXsr10test_utilsE35device_test_enabled_for_warp_size_vIXT1_EEEvE4typeEPT_S4_
	.p2align	8
	.type	_Z18warp_reduce_kernelIiLj64ELj8EENSt9enable_ifIXsr10test_utilsE35device_test_enabled_for_warp_size_vIXT1_EEEvE4typeEPT_S4_,@function
_Z18warp_reduce_kernelIiLj64ELj8EENSt9enable_ifIXsr10test_utilsE35device_test_enabled_for_warp_size_vIXT1_EEEvE4typeEPT_S4_: ; @_Z18warp_reduce_kernelIiLj64ELj8EENSt9enable_ifIXsr10test_utilsE35device_test_enabled_for_warp_size_vIXT1_EEEvE4typeEPT_S4_
; %bb.0:
	s_clause 0x1
	s_load_b32 s4, s[0:1], 0x1c
	s_load_b128 s[0:3], s[0:1], 0x0
	s_waitcnt lgkmcnt(0)
	s_and_b32 s4, s4, 0xffff
	s_delay_alu instid0(SALU_CYCLE_1) | instskip(SKIP_2) | instid1(VALU_DEP_2)
	v_mad_u64_u32 v[1:2], null, s15, s4, v[0:1]
	v_mov_b32_e32 v2, 0
	v_and_b32_e32 v0, 7, v0
	v_lshlrev_b64 v[2:3], 2, v[1:2]
	s_delay_alu instid0(VALU_DEP_1) | instskip(NEXT) | instid1(VALU_DEP_2)
	v_add_co_u32 v2, vcc_lo, s0, v2
	v_add_co_ci_u32_e32 v3, vcc_lo, s1, v3, vcc_lo
	s_mov_b32 s0, exec_lo
	global_load_b32 v2, v[2:3], off
	v_mbcnt_lo_u32_b32 v3, -1, 0
	s_delay_alu instid0(VALU_DEP_1) | instskip(NEXT) | instid1(VALU_DEP_1)
	v_and_b32_e32 v4, 7, v3
	v_cmp_ne_u32_e32 vcc_lo, 7, v4
	v_add_co_ci_u32_e32 v5, vcc_lo, 0, v3, vcc_lo
	v_cmp_gt_u32_e32 vcc_lo, 6, v4
	s_delay_alu instid0(VALU_DEP_2) | instskip(SKIP_2) | instid1(VALU_DEP_2)
	v_lshlrev_b32_e32 v5, 2, v5
	v_cndmask_b32_e64 v6, 0, 1, vcc_lo
	v_cmp_gt_u32_e32 vcc_lo, 4, v4
	v_lshlrev_b32_e32 v6, 1, v6
	v_cndmask_b32_e64 v4, 0, 1, vcc_lo
	s_delay_alu instid0(VALU_DEP_2) | instskip(NEXT) | instid1(VALU_DEP_2)
	v_add_lshl_u32 v6, v6, v3, 2
	v_lshlrev_b32_e32 v4, 2, v4
	s_delay_alu instid0(VALU_DEP_1)
	v_add_lshl_u32 v3, v4, v3, 2
	s_waitcnt vmcnt(0)
	ds_bpermute_b32 v5, v5, v2
	s_waitcnt lgkmcnt(0)
	v_add_nc_u32_e32 v2, v5, v2
	ds_bpermute_b32 v5, v6, v2
	s_waitcnt lgkmcnt(0)
	v_add_nc_u32_e32 v2, v5, v2
	ds_bpermute_b32 v3, v3, v2
	v_cmpx_eq_u32_e32 0, v0
	s_cbranch_execz .LBB57_2
; %bb.1:
	v_lshrrev_b32_e32 v0, 1, v1
	s_waitcnt lgkmcnt(0)
	v_add_nc_u32_e32 v1, v3, v2
	s_delay_alu instid0(VALU_DEP_2)
	v_and_b32_e32 v0, 0x7ffffffc, v0
	global_store_b32 v0, v1, s[2:3]
.LBB57_2:
	s_nop 0
	s_sendmsg sendmsg(MSG_DEALLOC_VGPRS)
	s_endpgm
	.section	.rodata,"a",@progbits
	.p2align	6, 0x0
	.amdhsa_kernel _Z18warp_reduce_kernelIiLj64ELj8EENSt9enable_ifIXsr10test_utilsE35device_test_enabled_for_warp_size_vIXT1_EEEvE4typeEPT_S4_
		.amdhsa_group_segment_fixed_size 0
		.amdhsa_private_segment_fixed_size 0
		.amdhsa_kernarg_size 272
		.amdhsa_user_sgpr_count 15
		.amdhsa_user_sgpr_dispatch_ptr 0
		.amdhsa_user_sgpr_queue_ptr 0
		.amdhsa_user_sgpr_kernarg_segment_ptr 1
		.amdhsa_user_sgpr_dispatch_id 0
		.amdhsa_user_sgpr_private_segment_size 0
		.amdhsa_wavefront_size32 1
		.amdhsa_uses_dynamic_stack 0
		.amdhsa_enable_private_segment 0
		.amdhsa_system_sgpr_workgroup_id_x 1
		.amdhsa_system_sgpr_workgroup_id_y 0
		.amdhsa_system_sgpr_workgroup_id_z 0
		.amdhsa_system_sgpr_workgroup_info 0
		.amdhsa_system_vgpr_workitem_id 0
		.amdhsa_next_free_vgpr 7
		.amdhsa_next_free_sgpr 16
		.amdhsa_reserve_vcc 1
		.amdhsa_float_round_mode_32 0
		.amdhsa_float_round_mode_16_64 0
		.amdhsa_float_denorm_mode_32 3
		.amdhsa_float_denorm_mode_16_64 3
		.amdhsa_dx10_clamp 1
		.amdhsa_ieee_mode 1
		.amdhsa_fp16_overflow 0
		.amdhsa_workgroup_processor_mode 1
		.amdhsa_memory_ordered 1
		.amdhsa_forward_progress 0
		.amdhsa_shared_vgpr_count 0
		.amdhsa_exception_fp_ieee_invalid_op 0
		.amdhsa_exception_fp_denorm_src 0
		.amdhsa_exception_fp_ieee_div_zero 0
		.amdhsa_exception_fp_ieee_overflow 0
		.amdhsa_exception_fp_ieee_underflow 0
		.amdhsa_exception_fp_ieee_inexact 0
		.amdhsa_exception_int_div_zero 0
	.end_amdhsa_kernel
	.section	.text._Z18warp_reduce_kernelIiLj64ELj8EENSt9enable_ifIXsr10test_utilsE35device_test_enabled_for_warp_size_vIXT1_EEEvE4typeEPT_S4_,"axG",@progbits,_Z18warp_reduce_kernelIiLj64ELj8EENSt9enable_ifIXsr10test_utilsE35device_test_enabled_for_warp_size_vIXT1_EEEvE4typeEPT_S4_,comdat
.Lfunc_end57:
	.size	_Z18warp_reduce_kernelIiLj64ELj8EENSt9enable_ifIXsr10test_utilsE35device_test_enabled_for_warp_size_vIXT1_EEEvE4typeEPT_S4_, .Lfunc_end57-_Z18warp_reduce_kernelIiLj64ELj8EENSt9enable_ifIXsr10test_utilsE35device_test_enabled_for_warp_size_vIXT1_EEEvE4typeEPT_S4_
                                        ; -- End function
	.section	.AMDGPU.csdata,"",@progbits
; Kernel info:
; codeLenInByte = 272
; NumSgprs: 18
; NumVgprs: 7
; ScratchSize: 0
; MemoryBound: 0
; FloatMode: 240
; IeeeMode: 1
; LDSByteSize: 0 bytes/workgroup (compile time only)
; SGPRBlocks: 2
; VGPRBlocks: 0
; NumSGPRsForWavesPerEU: 18
; NumVGPRsForWavesPerEU: 7
; Occupancy: 16
; WaveLimiterHint : 0
; COMPUTE_PGM_RSRC2:SCRATCH_EN: 0
; COMPUTE_PGM_RSRC2:USER_SGPR: 15
; COMPUTE_PGM_RSRC2:TRAP_HANDLER: 0
; COMPUTE_PGM_RSRC2:TGID_X_EN: 1
; COMPUTE_PGM_RSRC2:TGID_Y_EN: 0
; COMPUTE_PGM_RSRC2:TGID_Z_EN: 0
; COMPUTE_PGM_RSRC2:TIDIG_COMP_CNT: 0
	.section	.text._Z18warp_reduce_kernelIiLj32ELj4EENSt9enable_ifIXsr10test_utilsE35device_test_enabled_for_warp_size_vIXT1_EEEvE4typeEPT_S4_,"axG",@progbits,_Z18warp_reduce_kernelIiLj32ELj4EENSt9enable_ifIXsr10test_utilsE35device_test_enabled_for_warp_size_vIXT1_EEEvE4typeEPT_S4_,comdat
	.protected	_Z18warp_reduce_kernelIiLj32ELj4EENSt9enable_ifIXsr10test_utilsE35device_test_enabled_for_warp_size_vIXT1_EEEvE4typeEPT_S4_ ; -- Begin function _Z18warp_reduce_kernelIiLj32ELj4EENSt9enable_ifIXsr10test_utilsE35device_test_enabled_for_warp_size_vIXT1_EEEvE4typeEPT_S4_
	.globl	_Z18warp_reduce_kernelIiLj32ELj4EENSt9enable_ifIXsr10test_utilsE35device_test_enabled_for_warp_size_vIXT1_EEEvE4typeEPT_S4_
	.p2align	8
	.type	_Z18warp_reduce_kernelIiLj32ELj4EENSt9enable_ifIXsr10test_utilsE35device_test_enabled_for_warp_size_vIXT1_EEEvE4typeEPT_S4_,@function
_Z18warp_reduce_kernelIiLj32ELj4EENSt9enable_ifIXsr10test_utilsE35device_test_enabled_for_warp_size_vIXT1_EEEvE4typeEPT_S4_: ; @_Z18warp_reduce_kernelIiLj32ELj4EENSt9enable_ifIXsr10test_utilsE35device_test_enabled_for_warp_size_vIXT1_EEEvE4typeEPT_S4_
; %bb.0:
	s_clause 0x1
	s_load_b32 s4, s[0:1], 0x1c
	s_load_b128 s[0:3], s[0:1], 0x0
	s_waitcnt lgkmcnt(0)
	s_and_b32 s4, s4, 0xffff
	s_delay_alu instid0(SALU_CYCLE_1) | instskip(SKIP_2) | instid1(VALU_DEP_2)
	v_mad_u64_u32 v[1:2], null, s15, s4, v[0:1]
	v_mov_b32_e32 v2, 0
	v_and_b32_e32 v0, 3, v0
	v_lshlrev_b64 v[2:3], 2, v[1:2]
	s_delay_alu instid0(VALU_DEP_1) | instskip(NEXT) | instid1(VALU_DEP_2)
	v_add_co_u32 v2, vcc_lo, s0, v2
	v_add_co_ci_u32_e32 v3, vcc_lo, s1, v3, vcc_lo
	s_mov_b32 s0, exec_lo
	global_load_b32 v2, v[2:3], off
	v_mbcnt_lo_u32_b32 v3, -1, 0
	s_delay_alu instid0(VALU_DEP_1) | instskip(NEXT) | instid1(VALU_DEP_1)
	v_and_b32_e32 v4, 3, v3
	v_cmp_ne_u32_e32 vcc_lo, 3, v4
	v_add_co_ci_u32_e32 v5, vcc_lo, 0, v3, vcc_lo
	v_cmp_gt_u32_e32 vcc_lo, 2, v4
	s_delay_alu instid0(VALU_DEP_2) | instskip(SKIP_1) | instid1(VALU_DEP_1)
	v_lshlrev_b32_e32 v5, 2, v5
	v_cndmask_b32_e64 v4, 0, 1, vcc_lo
	v_lshlrev_b32_e32 v4, 1, v4
	s_delay_alu instid0(VALU_DEP_1)
	v_add_lshl_u32 v3, v4, v3, 2
	s_waitcnt vmcnt(0)
	ds_bpermute_b32 v5, v5, v2
	s_waitcnt lgkmcnt(0)
	v_add_nc_u32_e32 v2, v5, v2
	ds_bpermute_b32 v3, v3, v2
	v_cmpx_eq_u32_e32 0, v0
	s_cbranch_execz .LBB58_2
; %bb.1:
	v_and_b32_e32 v0, -4, v1
	s_waitcnt lgkmcnt(0)
	v_add_nc_u32_e32 v1, v3, v2
	global_store_b32 v0, v1, s[2:3]
.LBB58_2:
	s_nop 0
	s_sendmsg sendmsg(MSG_DEALLOC_VGPRS)
	s_endpgm
	.section	.rodata,"a",@progbits
	.p2align	6, 0x0
	.amdhsa_kernel _Z18warp_reduce_kernelIiLj32ELj4EENSt9enable_ifIXsr10test_utilsE35device_test_enabled_for_warp_size_vIXT1_EEEvE4typeEPT_S4_
		.amdhsa_group_segment_fixed_size 0
		.amdhsa_private_segment_fixed_size 0
		.amdhsa_kernarg_size 272
		.amdhsa_user_sgpr_count 15
		.amdhsa_user_sgpr_dispatch_ptr 0
		.amdhsa_user_sgpr_queue_ptr 0
		.amdhsa_user_sgpr_kernarg_segment_ptr 1
		.amdhsa_user_sgpr_dispatch_id 0
		.amdhsa_user_sgpr_private_segment_size 0
		.amdhsa_wavefront_size32 1
		.amdhsa_uses_dynamic_stack 0
		.amdhsa_enable_private_segment 0
		.amdhsa_system_sgpr_workgroup_id_x 1
		.amdhsa_system_sgpr_workgroup_id_y 0
		.amdhsa_system_sgpr_workgroup_id_z 0
		.amdhsa_system_sgpr_workgroup_info 0
		.amdhsa_system_vgpr_workitem_id 0
		.amdhsa_next_free_vgpr 6
		.amdhsa_next_free_sgpr 16
		.amdhsa_reserve_vcc 1
		.amdhsa_float_round_mode_32 0
		.amdhsa_float_round_mode_16_64 0
		.amdhsa_float_denorm_mode_32 3
		.amdhsa_float_denorm_mode_16_64 3
		.amdhsa_dx10_clamp 1
		.amdhsa_ieee_mode 1
		.amdhsa_fp16_overflow 0
		.amdhsa_workgroup_processor_mode 1
		.amdhsa_memory_ordered 1
		.amdhsa_forward_progress 0
		.amdhsa_shared_vgpr_count 0
		.amdhsa_exception_fp_ieee_invalid_op 0
		.amdhsa_exception_fp_denorm_src 0
		.amdhsa_exception_fp_ieee_div_zero 0
		.amdhsa_exception_fp_ieee_overflow 0
		.amdhsa_exception_fp_ieee_underflow 0
		.amdhsa_exception_fp_ieee_inexact 0
		.amdhsa_exception_int_div_zero 0
	.end_amdhsa_kernel
	.section	.text._Z18warp_reduce_kernelIiLj32ELj4EENSt9enable_ifIXsr10test_utilsE35device_test_enabled_for_warp_size_vIXT1_EEEvE4typeEPT_S4_,"axG",@progbits,_Z18warp_reduce_kernelIiLj32ELj4EENSt9enable_ifIXsr10test_utilsE35device_test_enabled_for_warp_size_vIXT1_EEEvE4typeEPT_S4_,comdat
.Lfunc_end58:
	.size	_Z18warp_reduce_kernelIiLj32ELj4EENSt9enable_ifIXsr10test_utilsE35device_test_enabled_for_warp_size_vIXT1_EEEvE4typeEPT_S4_, .Lfunc_end58-_Z18warp_reduce_kernelIiLj32ELj4EENSt9enable_ifIXsr10test_utilsE35device_test_enabled_for_warp_size_vIXT1_EEEvE4typeEPT_S4_
                                        ; -- End function
	.section	.AMDGPU.csdata,"",@progbits
; Kernel info:
; codeLenInByte = 216
; NumSgprs: 18
; NumVgprs: 6
; ScratchSize: 0
; MemoryBound: 0
; FloatMode: 240
; IeeeMode: 1
; LDSByteSize: 0 bytes/workgroup (compile time only)
; SGPRBlocks: 2
; VGPRBlocks: 0
; NumSGPRsForWavesPerEU: 18
; NumVGPRsForWavesPerEU: 6
; Occupancy: 16
; WaveLimiterHint : 0
; COMPUTE_PGM_RSRC2:SCRATCH_EN: 0
; COMPUTE_PGM_RSRC2:USER_SGPR: 15
; COMPUTE_PGM_RSRC2:TRAP_HANDLER: 0
; COMPUTE_PGM_RSRC2:TGID_X_EN: 1
; COMPUTE_PGM_RSRC2:TGID_Y_EN: 0
; COMPUTE_PGM_RSRC2:TGID_Z_EN: 0
; COMPUTE_PGM_RSRC2:TIDIG_COMP_CNT: 0
	.section	.text._Z18warp_reduce_kernelIiLj64ELj4EENSt9enable_ifIXsr10test_utilsE35device_test_enabled_for_warp_size_vIXT1_EEEvE4typeEPT_S4_,"axG",@progbits,_Z18warp_reduce_kernelIiLj64ELj4EENSt9enable_ifIXsr10test_utilsE35device_test_enabled_for_warp_size_vIXT1_EEEvE4typeEPT_S4_,comdat
	.protected	_Z18warp_reduce_kernelIiLj64ELj4EENSt9enable_ifIXsr10test_utilsE35device_test_enabled_for_warp_size_vIXT1_EEEvE4typeEPT_S4_ ; -- Begin function _Z18warp_reduce_kernelIiLj64ELj4EENSt9enable_ifIXsr10test_utilsE35device_test_enabled_for_warp_size_vIXT1_EEEvE4typeEPT_S4_
	.globl	_Z18warp_reduce_kernelIiLj64ELj4EENSt9enable_ifIXsr10test_utilsE35device_test_enabled_for_warp_size_vIXT1_EEEvE4typeEPT_S4_
	.p2align	8
	.type	_Z18warp_reduce_kernelIiLj64ELj4EENSt9enable_ifIXsr10test_utilsE35device_test_enabled_for_warp_size_vIXT1_EEEvE4typeEPT_S4_,@function
_Z18warp_reduce_kernelIiLj64ELj4EENSt9enable_ifIXsr10test_utilsE35device_test_enabled_for_warp_size_vIXT1_EEEvE4typeEPT_S4_: ; @_Z18warp_reduce_kernelIiLj64ELj4EENSt9enable_ifIXsr10test_utilsE35device_test_enabled_for_warp_size_vIXT1_EEEvE4typeEPT_S4_
; %bb.0:
	s_clause 0x1
	s_load_b32 s4, s[0:1], 0x1c
	s_load_b128 s[0:3], s[0:1], 0x0
	s_waitcnt lgkmcnt(0)
	s_and_b32 s4, s4, 0xffff
	s_delay_alu instid0(SALU_CYCLE_1) | instskip(SKIP_2) | instid1(VALU_DEP_2)
	v_mad_u64_u32 v[1:2], null, s15, s4, v[0:1]
	v_mov_b32_e32 v2, 0
	v_and_b32_e32 v0, 3, v0
	v_lshlrev_b64 v[2:3], 2, v[1:2]
	s_delay_alu instid0(VALU_DEP_1) | instskip(NEXT) | instid1(VALU_DEP_2)
	v_add_co_u32 v2, vcc_lo, s0, v2
	v_add_co_ci_u32_e32 v3, vcc_lo, s1, v3, vcc_lo
	s_mov_b32 s0, exec_lo
	global_load_b32 v2, v[2:3], off
	v_mbcnt_lo_u32_b32 v3, -1, 0
	s_delay_alu instid0(VALU_DEP_1) | instskip(NEXT) | instid1(VALU_DEP_1)
	v_and_b32_e32 v4, 3, v3
	v_cmp_ne_u32_e32 vcc_lo, 3, v4
	v_add_co_ci_u32_e32 v5, vcc_lo, 0, v3, vcc_lo
	v_cmp_gt_u32_e32 vcc_lo, 2, v4
	s_delay_alu instid0(VALU_DEP_2) | instskip(SKIP_1) | instid1(VALU_DEP_1)
	v_lshlrev_b32_e32 v5, 2, v5
	v_cndmask_b32_e64 v4, 0, 1, vcc_lo
	v_lshlrev_b32_e32 v4, 1, v4
	s_delay_alu instid0(VALU_DEP_1)
	v_add_lshl_u32 v3, v4, v3, 2
	s_waitcnt vmcnt(0)
	ds_bpermute_b32 v5, v5, v2
	s_waitcnt lgkmcnt(0)
	v_add_nc_u32_e32 v2, v5, v2
	ds_bpermute_b32 v3, v3, v2
	v_cmpx_eq_u32_e32 0, v0
	s_cbranch_execz .LBB59_2
; %bb.1:
	v_and_b32_e32 v0, -4, v1
	s_waitcnt lgkmcnt(0)
	v_add_nc_u32_e32 v1, v3, v2
	global_store_b32 v0, v1, s[2:3]
.LBB59_2:
	s_nop 0
	s_sendmsg sendmsg(MSG_DEALLOC_VGPRS)
	s_endpgm
	.section	.rodata,"a",@progbits
	.p2align	6, 0x0
	.amdhsa_kernel _Z18warp_reduce_kernelIiLj64ELj4EENSt9enable_ifIXsr10test_utilsE35device_test_enabled_for_warp_size_vIXT1_EEEvE4typeEPT_S4_
		.amdhsa_group_segment_fixed_size 0
		.amdhsa_private_segment_fixed_size 0
		.amdhsa_kernarg_size 272
		.amdhsa_user_sgpr_count 15
		.amdhsa_user_sgpr_dispatch_ptr 0
		.amdhsa_user_sgpr_queue_ptr 0
		.amdhsa_user_sgpr_kernarg_segment_ptr 1
		.amdhsa_user_sgpr_dispatch_id 0
		.amdhsa_user_sgpr_private_segment_size 0
		.amdhsa_wavefront_size32 1
		.amdhsa_uses_dynamic_stack 0
		.amdhsa_enable_private_segment 0
		.amdhsa_system_sgpr_workgroup_id_x 1
		.amdhsa_system_sgpr_workgroup_id_y 0
		.amdhsa_system_sgpr_workgroup_id_z 0
		.amdhsa_system_sgpr_workgroup_info 0
		.amdhsa_system_vgpr_workitem_id 0
		.amdhsa_next_free_vgpr 6
		.amdhsa_next_free_sgpr 16
		.amdhsa_reserve_vcc 1
		.amdhsa_float_round_mode_32 0
		.amdhsa_float_round_mode_16_64 0
		.amdhsa_float_denorm_mode_32 3
		.amdhsa_float_denorm_mode_16_64 3
		.amdhsa_dx10_clamp 1
		.amdhsa_ieee_mode 1
		.amdhsa_fp16_overflow 0
		.amdhsa_workgroup_processor_mode 1
		.amdhsa_memory_ordered 1
		.amdhsa_forward_progress 0
		.amdhsa_shared_vgpr_count 0
		.amdhsa_exception_fp_ieee_invalid_op 0
		.amdhsa_exception_fp_denorm_src 0
		.amdhsa_exception_fp_ieee_div_zero 0
		.amdhsa_exception_fp_ieee_overflow 0
		.amdhsa_exception_fp_ieee_underflow 0
		.amdhsa_exception_fp_ieee_inexact 0
		.amdhsa_exception_int_div_zero 0
	.end_amdhsa_kernel
	.section	.text._Z18warp_reduce_kernelIiLj64ELj4EENSt9enable_ifIXsr10test_utilsE35device_test_enabled_for_warp_size_vIXT1_EEEvE4typeEPT_S4_,"axG",@progbits,_Z18warp_reduce_kernelIiLj64ELj4EENSt9enable_ifIXsr10test_utilsE35device_test_enabled_for_warp_size_vIXT1_EEEvE4typeEPT_S4_,comdat
.Lfunc_end59:
	.size	_Z18warp_reduce_kernelIiLj64ELj4EENSt9enable_ifIXsr10test_utilsE35device_test_enabled_for_warp_size_vIXT1_EEEvE4typeEPT_S4_, .Lfunc_end59-_Z18warp_reduce_kernelIiLj64ELj4EENSt9enable_ifIXsr10test_utilsE35device_test_enabled_for_warp_size_vIXT1_EEEvE4typeEPT_S4_
                                        ; -- End function
	.section	.AMDGPU.csdata,"",@progbits
; Kernel info:
; codeLenInByte = 216
; NumSgprs: 18
; NumVgprs: 6
; ScratchSize: 0
; MemoryBound: 0
; FloatMode: 240
; IeeeMode: 1
; LDSByteSize: 0 bytes/workgroup (compile time only)
; SGPRBlocks: 2
; VGPRBlocks: 0
; NumSGPRsForWavesPerEU: 18
; NumVGPRsForWavesPerEU: 6
; Occupancy: 16
; WaveLimiterHint : 0
; COMPUTE_PGM_RSRC2:SCRATCH_EN: 0
; COMPUTE_PGM_RSRC2:USER_SGPR: 15
; COMPUTE_PGM_RSRC2:TRAP_HANDLER: 0
; COMPUTE_PGM_RSRC2:TGID_X_EN: 1
; COMPUTE_PGM_RSRC2:TGID_Y_EN: 0
; COMPUTE_PGM_RSRC2:TGID_Z_EN: 0
; COMPUTE_PGM_RSRC2:TIDIG_COMP_CNT: 0
	.section	.text._Z18warp_reduce_kernelIiLj32ELj2EENSt9enable_ifIXsr10test_utilsE35device_test_enabled_for_warp_size_vIXT1_EEEvE4typeEPT_S4_,"axG",@progbits,_Z18warp_reduce_kernelIiLj32ELj2EENSt9enable_ifIXsr10test_utilsE35device_test_enabled_for_warp_size_vIXT1_EEEvE4typeEPT_S4_,comdat
	.protected	_Z18warp_reduce_kernelIiLj32ELj2EENSt9enable_ifIXsr10test_utilsE35device_test_enabled_for_warp_size_vIXT1_EEEvE4typeEPT_S4_ ; -- Begin function _Z18warp_reduce_kernelIiLj32ELj2EENSt9enable_ifIXsr10test_utilsE35device_test_enabled_for_warp_size_vIXT1_EEEvE4typeEPT_S4_
	.globl	_Z18warp_reduce_kernelIiLj32ELj2EENSt9enable_ifIXsr10test_utilsE35device_test_enabled_for_warp_size_vIXT1_EEEvE4typeEPT_S4_
	.p2align	8
	.type	_Z18warp_reduce_kernelIiLj32ELj2EENSt9enable_ifIXsr10test_utilsE35device_test_enabled_for_warp_size_vIXT1_EEEvE4typeEPT_S4_,@function
_Z18warp_reduce_kernelIiLj32ELj2EENSt9enable_ifIXsr10test_utilsE35device_test_enabled_for_warp_size_vIXT1_EEEvE4typeEPT_S4_: ; @_Z18warp_reduce_kernelIiLj32ELj2EENSt9enable_ifIXsr10test_utilsE35device_test_enabled_for_warp_size_vIXT1_EEEvE4typeEPT_S4_
; %bb.0:
	s_clause 0x1
	s_load_b32 s4, s[0:1], 0x1c
	s_load_b128 s[0:3], s[0:1], 0x0
	s_waitcnt lgkmcnt(0)
	s_and_b32 s4, s4, 0xffff
	s_delay_alu instid0(SALU_CYCLE_1) | instskip(SKIP_2) | instid1(VALU_DEP_2)
	v_mad_u64_u32 v[1:2], null, s15, s4, v[0:1]
	v_mov_b32_e32 v2, 0
	v_and_b32_e32 v0, 1, v0
	v_lshlrev_b64 v[3:4], 2, v[1:2]
	s_delay_alu instid0(VALU_DEP_1) | instskip(NEXT) | instid1(VALU_DEP_2)
	v_add_co_u32 v3, vcc_lo, s0, v3
	v_add_co_ci_u32_e32 v4, vcc_lo, s1, v4, vcc_lo
	s_mov_b32 s0, exec_lo
	global_load_b32 v3, v[3:4], off
	v_mbcnt_lo_u32_b32 v4, -1, 0
	s_delay_alu instid0(VALU_DEP_1)
	v_lshl_or_b32 v4, v4, 2, 4
	s_waitcnt vmcnt(0)
	ds_bpermute_b32 v4, v4, v3
	v_cmpx_eq_u32_e32 0, v0
	s_cbranch_execz .LBB60_2
; %bb.1:
	v_lshrrev_b32_e32 v1, 1, v1
	s_delay_alu instid0(VALU_DEP_1) | instskip(SKIP_2) | instid1(VALU_DEP_2)
	v_lshlrev_b64 v[0:1], 2, v[1:2]
	s_waitcnt lgkmcnt(0)
	v_add_nc_u32_e32 v2, v4, v3
	v_add_co_u32 v0, vcc_lo, s2, v0
	s_delay_alu instid0(VALU_DEP_3)
	v_add_co_ci_u32_e32 v1, vcc_lo, s3, v1, vcc_lo
	global_store_b32 v[0:1], v2, off
.LBB60_2:
	s_nop 0
	s_sendmsg sendmsg(MSG_DEALLOC_VGPRS)
	s_endpgm
	.section	.rodata,"a",@progbits
	.p2align	6, 0x0
	.amdhsa_kernel _Z18warp_reduce_kernelIiLj32ELj2EENSt9enable_ifIXsr10test_utilsE35device_test_enabled_for_warp_size_vIXT1_EEEvE4typeEPT_S4_
		.amdhsa_group_segment_fixed_size 0
		.amdhsa_private_segment_fixed_size 0
		.amdhsa_kernarg_size 272
		.amdhsa_user_sgpr_count 15
		.amdhsa_user_sgpr_dispatch_ptr 0
		.amdhsa_user_sgpr_queue_ptr 0
		.amdhsa_user_sgpr_kernarg_segment_ptr 1
		.amdhsa_user_sgpr_dispatch_id 0
		.amdhsa_user_sgpr_private_segment_size 0
		.amdhsa_wavefront_size32 1
		.amdhsa_uses_dynamic_stack 0
		.amdhsa_enable_private_segment 0
		.amdhsa_system_sgpr_workgroup_id_x 1
		.amdhsa_system_sgpr_workgroup_id_y 0
		.amdhsa_system_sgpr_workgroup_id_z 0
		.amdhsa_system_sgpr_workgroup_info 0
		.amdhsa_system_vgpr_workitem_id 0
		.amdhsa_next_free_vgpr 5
		.amdhsa_next_free_sgpr 16
		.amdhsa_reserve_vcc 1
		.amdhsa_float_round_mode_32 0
		.amdhsa_float_round_mode_16_64 0
		.amdhsa_float_denorm_mode_32 3
		.amdhsa_float_denorm_mode_16_64 3
		.amdhsa_dx10_clamp 1
		.amdhsa_ieee_mode 1
		.amdhsa_fp16_overflow 0
		.amdhsa_workgroup_processor_mode 1
		.amdhsa_memory_ordered 1
		.amdhsa_forward_progress 0
		.amdhsa_shared_vgpr_count 0
		.amdhsa_exception_fp_ieee_invalid_op 0
		.amdhsa_exception_fp_denorm_src 0
		.amdhsa_exception_fp_ieee_div_zero 0
		.amdhsa_exception_fp_ieee_overflow 0
		.amdhsa_exception_fp_ieee_underflow 0
		.amdhsa_exception_fp_ieee_inexact 0
		.amdhsa_exception_int_div_zero 0
	.end_amdhsa_kernel
	.section	.text._Z18warp_reduce_kernelIiLj32ELj2EENSt9enable_ifIXsr10test_utilsE35device_test_enabled_for_warp_size_vIXT1_EEEvE4typeEPT_S4_,"axG",@progbits,_Z18warp_reduce_kernelIiLj32ELj2EENSt9enable_ifIXsr10test_utilsE35device_test_enabled_for_warp_size_vIXT1_EEEvE4typeEPT_S4_,comdat
.Lfunc_end60:
	.size	_Z18warp_reduce_kernelIiLj32ELj2EENSt9enable_ifIXsr10test_utilsE35device_test_enabled_for_warp_size_vIXT1_EEEvE4typeEPT_S4_, .Lfunc_end60-_Z18warp_reduce_kernelIiLj32ELj2EENSt9enable_ifIXsr10test_utilsE35device_test_enabled_for_warp_size_vIXT1_EEEvE4typeEPT_S4_
                                        ; -- End function
	.section	.AMDGPU.csdata,"",@progbits
; Kernel info:
; codeLenInByte = 188
; NumSgprs: 18
; NumVgprs: 5
; ScratchSize: 0
; MemoryBound: 0
; FloatMode: 240
; IeeeMode: 1
; LDSByteSize: 0 bytes/workgroup (compile time only)
; SGPRBlocks: 2
; VGPRBlocks: 0
; NumSGPRsForWavesPerEU: 18
; NumVGPRsForWavesPerEU: 5
; Occupancy: 16
; WaveLimiterHint : 0
; COMPUTE_PGM_RSRC2:SCRATCH_EN: 0
; COMPUTE_PGM_RSRC2:USER_SGPR: 15
; COMPUTE_PGM_RSRC2:TRAP_HANDLER: 0
; COMPUTE_PGM_RSRC2:TGID_X_EN: 1
; COMPUTE_PGM_RSRC2:TGID_Y_EN: 0
; COMPUTE_PGM_RSRC2:TGID_Z_EN: 0
; COMPUTE_PGM_RSRC2:TIDIG_COMP_CNT: 0
	.section	.text._Z18warp_reduce_kernelIiLj64ELj2EENSt9enable_ifIXsr10test_utilsE35device_test_enabled_for_warp_size_vIXT1_EEEvE4typeEPT_S4_,"axG",@progbits,_Z18warp_reduce_kernelIiLj64ELj2EENSt9enable_ifIXsr10test_utilsE35device_test_enabled_for_warp_size_vIXT1_EEEvE4typeEPT_S4_,comdat
	.protected	_Z18warp_reduce_kernelIiLj64ELj2EENSt9enable_ifIXsr10test_utilsE35device_test_enabled_for_warp_size_vIXT1_EEEvE4typeEPT_S4_ ; -- Begin function _Z18warp_reduce_kernelIiLj64ELj2EENSt9enable_ifIXsr10test_utilsE35device_test_enabled_for_warp_size_vIXT1_EEEvE4typeEPT_S4_
	.globl	_Z18warp_reduce_kernelIiLj64ELj2EENSt9enable_ifIXsr10test_utilsE35device_test_enabled_for_warp_size_vIXT1_EEEvE4typeEPT_S4_
	.p2align	8
	.type	_Z18warp_reduce_kernelIiLj64ELj2EENSt9enable_ifIXsr10test_utilsE35device_test_enabled_for_warp_size_vIXT1_EEEvE4typeEPT_S4_,@function
_Z18warp_reduce_kernelIiLj64ELj2EENSt9enable_ifIXsr10test_utilsE35device_test_enabled_for_warp_size_vIXT1_EEEvE4typeEPT_S4_: ; @_Z18warp_reduce_kernelIiLj64ELj2EENSt9enable_ifIXsr10test_utilsE35device_test_enabled_for_warp_size_vIXT1_EEEvE4typeEPT_S4_
; %bb.0:
	s_clause 0x1
	s_load_b32 s4, s[0:1], 0x1c
	s_load_b128 s[0:3], s[0:1], 0x0
	s_waitcnt lgkmcnt(0)
	s_and_b32 s4, s4, 0xffff
	s_delay_alu instid0(SALU_CYCLE_1) | instskip(SKIP_2) | instid1(VALU_DEP_2)
	v_mad_u64_u32 v[1:2], null, s15, s4, v[0:1]
	v_mov_b32_e32 v2, 0
	v_and_b32_e32 v0, 1, v0
	v_lshlrev_b64 v[3:4], 2, v[1:2]
	s_delay_alu instid0(VALU_DEP_1) | instskip(NEXT) | instid1(VALU_DEP_2)
	v_add_co_u32 v3, vcc_lo, s0, v3
	v_add_co_ci_u32_e32 v4, vcc_lo, s1, v4, vcc_lo
	s_mov_b32 s0, exec_lo
	global_load_b32 v3, v[3:4], off
	v_mbcnt_lo_u32_b32 v4, -1, 0
	s_delay_alu instid0(VALU_DEP_1)
	v_lshl_or_b32 v4, v4, 2, 4
	s_waitcnt vmcnt(0)
	ds_bpermute_b32 v4, v4, v3
	v_cmpx_eq_u32_e32 0, v0
	s_cbranch_execz .LBB61_2
; %bb.1:
	v_lshrrev_b32_e32 v1, 1, v1
	s_delay_alu instid0(VALU_DEP_1) | instskip(SKIP_2) | instid1(VALU_DEP_2)
	v_lshlrev_b64 v[0:1], 2, v[1:2]
	s_waitcnt lgkmcnt(0)
	v_add_nc_u32_e32 v2, v4, v3
	v_add_co_u32 v0, vcc_lo, s2, v0
	s_delay_alu instid0(VALU_DEP_3)
	v_add_co_ci_u32_e32 v1, vcc_lo, s3, v1, vcc_lo
	global_store_b32 v[0:1], v2, off
.LBB61_2:
	s_nop 0
	s_sendmsg sendmsg(MSG_DEALLOC_VGPRS)
	s_endpgm
	.section	.rodata,"a",@progbits
	.p2align	6, 0x0
	.amdhsa_kernel _Z18warp_reduce_kernelIiLj64ELj2EENSt9enable_ifIXsr10test_utilsE35device_test_enabled_for_warp_size_vIXT1_EEEvE4typeEPT_S4_
		.amdhsa_group_segment_fixed_size 0
		.amdhsa_private_segment_fixed_size 0
		.amdhsa_kernarg_size 272
		.amdhsa_user_sgpr_count 15
		.amdhsa_user_sgpr_dispatch_ptr 0
		.amdhsa_user_sgpr_queue_ptr 0
		.amdhsa_user_sgpr_kernarg_segment_ptr 1
		.amdhsa_user_sgpr_dispatch_id 0
		.amdhsa_user_sgpr_private_segment_size 0
		.amdhsa_wavefront_size32 1
		.amdhsa_uses_dynamic_stack 0
		.amdhsa_enable_private_segment 0
		.amdhsa_system_sgpr_workgroup_id_x 1
		.amdhsa_system_sgpr_workgroup_id_y 0
		.amdhsa_system_sgpr_workgroup_id_z 0
		.amdhsa_system_sgpr_workgroup_info 0
		.amdhsa_system_vgpr_workitem_id 0
		.amdhsa_next_free_vgpr 5
		.amdhsa_next_free_sgpr 16
		.amdhsa_reserve_vcc 1
		.amdhsa_float_round_mode_32 0
		.amdhsa_float_round_mode_16_64 0
		.amdhsa_float_denorm_mode_32 3
		.amdhsa_float_denorm_mode_16_64 3
		.amdhsa_dx10_clamp 1
		.amdhsa_ieee_mode 1
		.amdhsa_fp16_overflow 0
		.amdhsa_workgroup_processor_mode 1
		.amdhsa_memory_ordered 1
		.amdhsa_forward_progress 0
		.amdhsa_shared_vgpr_count 0
		.amdhsa_exception_fp_ieee_invalid_op 0
		.amdhsa_exception_fp_denorm_src 0
		.amdhsa_exception_fp_ieee_div_zero 0
		.amdhsa_exception_fp_ieee_overflow 0
		.amdhsa_exception_fp_ieee_underflow 0
		.amdhsa_exception_fp_ieee_inexact 0
		.amdhsa_exception_int_div_zero 0
	.end_amdhsa_kernel
	.section	.text._Z18warp_reduce_kernelIiLj64ELj2EENSt9enable_ifIXsr10test_utilsE35device_test_enabled_for_warp_size_vIXT1_EEEvE4typeEPT_S4_,"axG",@progbits,_Z18warp_reduce_kernelIiLj64ELj2EENSt9enable_ifIXsr10test_utilsE35device_test_enabled_for_warp_size_vIXT1_EEEvE4typeEPT_S4_,comdat
.Lfunc_end61:
	.size	_Z18warp_reduce_kernelIiLj64ELj2EENSt9enable_ifIXsr10test_utilsE35device_test_enabled_for_warp_size_vIXT1_EEEvE4typeEPT_S4_, .Lfunc_end61-_Z18warp_reduce_kernelIiLj64ELj2EENSt9enable_ifIXsr10test_utilsE35device_test_enabled_for_warp_size_vIXT1_EEEvE4typeEPT_S4_
                                        ; -- End function
	.section	.AMDGPU.csdata,"",@progbits
; Kernel info:
; codeLenInByte = 188
; NumSgprs: 18
; NumVgprs: 5
; ScratchSize: 0
; MemoryBound: 0
; FloatMode: 240
; IeeeMode: 1
; LDSByteSize: 0 bytes/workgroup (compile time only)
; SGPRBlocks: 2
; VGPRBlocks: 0
; NumSGPRsForWavesPerEU: 18
; NumVGPRsForWavesPerEU: 5
; Occupancy: 16
; WaveLimiterHint : 0
; COMPUTE_PGM_RSRC2:SCRATCH_EN: 0
; COMPUTE_PGM_RSRC2:USER_SGPR: 15
; COMPUTE_PGM_RSRC2:TRAP_HANDLER: 0
; COMPUTE_PGM_RSRC2:TGID_X_EN: 1
; COMPUTE_PGM_RSRC2:TGID_Y_EN: 0
; COMPUTE_PGM_RSRC2:TGID_Z_EN: 0
; COMPUTE_PGM_RSRC2:TIDIG_COMP_CNT: 0
	.section	.text._Z18warp_reduce_kernelIiLj32ELj1EENSt9enable_ifIXsr10test_utilsE35device_test_enabled_for_warp_size_vIXT1_EEEvE4typeEPT_S4_,"axG",@progbits,_Z18warp_reduce_kernelIiLj32ELj1EENSt9enable_ifIXsr10test_utilsE35device_test_enabled_for_warp_size_vIXT1_EEEvE4typeEPT_S4_,comdat
	.protected	_Z18warp_reduce_kernelIiLj32ELj1EENSt9enable_ifIXsr10test_utilsE35device_test_enabled_for_warp_size_vIXT1_EEEvE4typeEPT_S4_ ; -- Begin function _Z18warp_reduce_kernelIiLj32ELj1EENSt9enable_ifIXsr10test_utilsE35device_test_enabled_for_warp_size_vIXT1_EEEvE4typeEPT_S4_
	.globl	_Z18warp_reduce_kernelIiLj32ELj1EENSt9enable_ifIXsr10test_utilsE35device_test_enabled_for_warp_size_vIXT1_EEEvE4typeEPT_S4_
	.p2align	8
	.type	_Z18warp_reduce_kernelIiLj32ELj1EENSt9enable_ifIXsr10test_utilsE35device_test_enabled_for_warp_size_vIXT1_EEEvE4typeEPT_S4_,@function
_Z18warp_reduce_kernelIiLj32ELj1EENSt9enable_ifIXsr10test_utilsE35device_test_enabled_for_warp_size_vIXT1_EEEvE4typeEPT_S4_: ; @_Z18warp_reduce_kernelIiLj32ELj1EENSt9enable_ifIXsr10test_utilsE35device_test_enabled_for_warp_size_vIXT1_EEEvE4typeEPT_S4_
; %bb.0:
	s_clause 0x1
	s_load_b32 s4, s[0:1], 0x1c
	s_load_b128 s[0:3], s[0:1], 0x0
	s_waitcnt lgkmcnt(0)
	s_and_b32 s4, s4, 0xffff
	s_delay_alu instid0(SALU_CYCLE_1) | instskip(SKIP_1) | instid1(VALU_DEP_1)
	v_mad_u64_u32 v[1:2], null, s15, s4, v[0:1]
	v_mov_b32_e32 v2, 0
	v_lshlrev_b64 v[0:1], 2, v[1:2]
	s_delay_alu instid0(VALU_DEP_1) | instskip(NEXT) | instid1(VALU_DEP_2)
	v_add_co_u32 v2, vcc_lo, s0, v0
	v_add_co_ci_u32_e32 v3, vcc_lo, s1, v1, vcc_lo
	v_add_co_u32 v0, vcc_lo, s2, v0
	v_add_co_ci_u32_e32 v1, vcc_lo, s3, v1, vcc_lo
	global_load_b32 v2, v[2:3], off
	s_waitcnt vmcnt(0)
	global_store_b32 v[0:1], v2, off
	s_nop 0
	s_sendmsg sendmsg(MSG_DEALLOC_VGPRS)
	s_endpgm
	.section	.rodata,"a",@progbits
	.p2align	6, 0x0
	.amdhsa_kernel _Z18warp_reduce_kernelIiLj32ELj1EENSt9enable_ifIXsr10test_utilsE35device_test_enabled_for_warp_size_vIXT1_EEEvE4typeEPT_S4_
		.amdhsa_group_segment_fixed_size 0
		.amdhsa_private_segment_fixed_size 0
		.amdhsa_kernarg_size 272
		.amdhsa_user_sgpr_count 15
		.amdhsa_user_sgpr_dispatch_ptr 0
		.amdhsa_user_sgpr_queue_ptr 0
		.amdhsa_user_sgpr_kernarg_segment_ptr 1
		.amdhsa_user_sgpr_dispatch_id 0
		.amdhsa_user_sgpr_private_segment_size 0
		.amdhsa_wavefront_size32 1
		.amdhsa_uses_dynamic_stack 0
		.amdhsa_enable_private_segment 0
		.amdhsa_system_sgpr_workgroup_id_x 1
		.amdhsa_system_sgpr_workgroup_id_y 0
		.amdhsa_system_sgpr_workgroup_id_z 0
		.amdhsa_system_sgpr_workgroup_info 0
		.amdhsa_system_vgpr_workitem_id 0
		.amdhsa_next_free_vgpr 4
		.amdhsa_next_free_sgpr 16
		.amdhsa_reserve_vcc 1
		.amdhsa_float_round_mode_32 0
		.amdhsa_float_round_mode_16_64 0
		.amdhsa_float_denorm_mode_32 3
		.amdhsa_float_denorm_mode_16_64 3
		.amdhsa_dx10_clamp 1
		.amdhsa_ieee_mode 1
		.amdhsa_fp16_overflow 0
		.amdhsa_workgroup_processor_mode 1
		.amdhsa_memory_ordered 1
		.amdhsa_forward_progress 0
		.amdhsa_shared_vgpr_count 0
		.amdhsa_exception_fp_ieee_invalid_op 0
		.amdhsa_exception_fp_denorm_src 0
		.amdhsa_exception_fp_ieee_div_zero 0
		.amdhsa_exception_fp_ieee_overflow 0
		.amdhsa_exception_fp_ieee_underflow 0
		.amdhsa_exception_fp_ieee_inexact 0
		.amdhsa_exception_int_div_zero 0
	.end_amdhsa_kernel
	.section	.text._Z18warp_reduce_kernelIiLj32ELj1EENSt9enable_ifIXsr10test_utilsE35device_test_enabled_for_warp_size_vIXT1_EEEvE4typeEPT_S4_,"axG",@progbits,_Z18warp_reduce_kernelIiLj32ELj1EENSt9enable_ifIXsr10test_utilsE35device_test_enabled_for_warp_size_vIXT1_EEEvE4typeEPT_S4_,comdat
.Lfunc_end62:
	.size	_Z18warp_reduce_kernelIiLj32ELj1EENSt9enable_ifIXsr10test_utilsE35device_test_enabled_for_warp_size_vIXT1_EEEvE4typeEPT_S4_, .Lfunc_end62-_Z18warp_reduce_kernelIiLj32ELj1EENSt9enable_ifIXsr10test_utilsE35device_test_enabled_for_warp_size_vIXT1_EEEvE4typeEPT_S4_
                                        ; -- End function
	.section	.AMDGPU.csdata,"",@progbits
; Kernel info:
; codeLenInByte = 116
; NumSgprs: 18
; NumVgprs: 4
; ScratchSize: 0
; MemoryBound: 0
; FloatMode: 240
; IeeeMode: 1
; LDSByteSize: 0 bytes/workgroup (compile time only)
; SGPRBlocks: 2
; VGPRBlocks: 0
; NumSGPRsForWavesPerEU: 18
; NumVGPRsForWavesPerEU: 4
; Occupancy: 16
; WaveLimiterHint : 0
; COMPUTE_PGM_RSRC2:SCRATCH_EN: 0
; COMPUTE_PGM_RSRC2:USER_SGPR: 15
; COMPUTE_PGM_RSRC2:TRAP_HANDLER: 0
; COMPUTE_PGM_RSRC2:TGID_X_EN: 1
; COMPUTE_PGM_RSRC2:TGID_Y_EN: 0
; COMPUTE_PGM_RSRC2:TGID_Z_EN: 0
; COMPUTE_PGM_RSRC2:TIDIG_COMP_CNT: 0
	.section	.text._Z18warp_reduce_kernelIiLj64ELj1EENSt9enable_ifIXsr10test_utilsE35device_test_enabled_for_warp_size_vIXT1_EEEvE4typeEPT_S4_,"axG",@progbits,_Z18warp_reduce_kernelIiLj64ELj1EENSt9enable_ifIXsr10test_utilsE35device_test_enabled_for_warp_size_vIXT1_EEEvE4typeEPT_S4_,comdat
	.protected	_Z18warp_reduce_kernelIiLj64ELj1EENSt9enable_ifIXsr10test_utilsE35device_test_enabled_for_warp_size_vIXT1_EEEvE4typeEPT_S4_ ; -- Begin function _Z18warp_reduce_kernelIiLj64ELj1EENSt9enable_ifIXsr10test_utilsE35device_test_enabled_for_warp_size_vIXT1_EEEvE4typeEPT_S4_
	.globl	_Z18warp_reduce_kernelIiLj64ELj1EENSt9enable_ifIXsr10test_utilsE35device_test_enabled_for_warp_size_vIXT1_EEEvE4typeEPT_S4_
	.p2align	8
	.type	_Z18warp_reduce_kernelIiLj64ELj1EENSt9enable_ifIXsr10test_utilsE35device_test_enabled_for_warp_size_vIXT1_EEEvE4typeEPT_S4_,@function
_Z18warp_reduce_kernelIiLj64ELj1EENSt9enable_ifIXsr10test_utilsE35device_test_enabled_for_warp_size_vIXT1_EEEvE4typeEPT_S4_: ; @_Z18warp_reduce_kernelIiLj64ELj1EENSt9enable_ifIXsr10test_utilsE35device_test_enabled_for_warp_size_vIXT1_EEEvE4typeEPT_S4_
; %bb.0:
	s_clause 0x1
	s_load_b32 s4, s[0:1], 0x1c
	s_load_b128 s[0:3], s[0:1], 0x0
	s_waitcnt lgkmcnt(0)
	s_and_b32 s4, s4, 0xffff
	s_delay_alu instid0(SALU_CYCLE_1) | instskip(SKIP_1) | instid1(VALU_DEP_1)
	v_mad_u64_u32 v[1:2], null, s15, s4, v[0:1]
	v_mov_b32_e32 v2, 0
	v_lshlrev_b64 v[0:1], 2, v[1:2]
	s_delay_alu instid0(VALU_DEP_1) | instskip(NEXT) | instid1(VALU_DEP_2)
	v_add_co_u32 v2, vcc_lo, s0, v0
	v_add_co_ci_u32_e32 v3, vcc_lo, s1, v1, vcc_lo
	v_add_co_u32 v0, vcc_lo, s2, v0
	v_add_co_ci_u32_e32 v1, vcc_lo, s3, v1, vcc_lo
	global_load_b32 v2, v[2:3], off
	s_waitcnt vmcnt(0)
	global_store_b32 v[0:1], v2, off
	s_nop 0
	s_sendmsg sendmsg(MSG_DEALLOC_VGPRS)
	s_endpgm
	.section	.rodata,"a",@progbits
	.p2align	6, 0x0
	.amdhsa_kernel _Z18warp_reduce_kernelIiLj64ELj1EENSt9enable_ifIXsr10test_utilsE35device_test_enabled_for_warp_size_vIXT1_EEEvE4typeEPT_S4_
		.amdhsa_group_segment_fixed_size 0
		.amdhsa_private_segment_fixed_size 0
		.amdhsa_kernarg_size 272
		.amdhsa_user_sgpr_count 15
		.amdhsa_user_sgpr_dispatch_ptr 0
		.amdhsa_user_sgpr_queue_ptr 0
		.amdhsa_user_sgpr_kernarg_segment_ptr 1
		.amdhsa_user_sgpr_dispatch_id 0
		.amdhsa_user_sgpr_private_segment_size 0
		.amdhsa_wavefront_size32 1
		.amdhsa_uses_dynamic_stack 0
		.amdhsa_enable_private_segment 0
		.amdhsa_system_sgpr_workgroup_id_x 1
		.amdhsa_system_sgpr_workgroup_id_y 0
		.amdhsa_system_sgpr_workgroup_id_z 0
		.amdhsa_system_sgpr_workgroup_info 0
		.amdhsa_system_vgpr_workitem_id 0
		.amdhsa_next_free_vgpr 4
		.amdhsa_next_free_sgpr 16
		.amdhsa_reserve_vcc 1
		.amdhsa_float_round_mode_32 0
		.amdhsa_float_round_mode_16_64 0
		.amdhsa_float_denorm_mode_32 3
		.amdhsa_float_denorm_mode_16_64 3
		.amdhsa_dx10_clamp 1
		.amdhsa_ieee_mode 1
		.amdhsa_fp16_overflow 0
		.amdhsa_workgroup_processor_mode 1
		.amdhsa_memory_ordered 1
		.amdhsa_forward_progress 0
		.amdhsa_shared_vgpr_count 0
		.amdhsa_exception_fp_ieee_invalid_op 0
		.amdhsa_exception_fp_denorm_src 0
		.amdhsa_exception_fp_ieee_div_zero 0
		.amdhsa_exception_fp_ieee_overflow 0
		.amdhsa_exception_fp_ieee_underflow 0
		.amdhsa_exception_fp_ieee_inexact 0
		.amdhsa_exception_int_div_zero 0
	.end_amdhsa_kernel
	.section	.text._Z18warp_reduce_kernelIiLj64ELj1EENSt9enable_ifIXsr10test_utilsE35device_test_enabled_for_warp_size_vIXT1_EEEvE4typeEPT_S4_,"axG",@progbits,_Z18warp_reduce_kernelIiLj64ELj1EENSt9enable_ifIXsr10test_utilsE35device_test_enabled_for_warp_size_vIXT1_EEEvE4typeEPT_S4_,comdat
.Lfunc_end63:
	.size	_Z18warp_reduce_kernelIiLj64ELj1EENSt9enable_ifIXsr10test_utilsE35device_test_enabled_for_warp_size_vIXT1_EEEvE4typeEPT_S4_, .Lfunc_end63-_Z18warp_reduce_kernelIiLj64ELj1EENSt9enable_ifIXsr10test_utilsE35device_test_enabled_for_warp_size_vIXT1_EEEvE4typeEPT_S4_
                                        ; -- End function
	.section	.AMDGPU.csdata,"",@progbits
; Kernel info:
; codeLenInByte = 116
; NumSgprs: 18
; NumVgprs: 4
; ScratchSize: 0
; MemoryBound: 0
; FloatMode: 240
; IeeeMode: 1
; LDSByteSize: 0 bytes/workgroup (compile time only)
; SGPRBlocks: 2
; VGPRBlocks: 0
; NumSGPRsForWavesPerEU: 18
; NumVGPRsForWavesPerEU: 4
; Occupancy: 16
; WaveLimiterHint : 0
; COMPUTE_PGM_RSRC2:SCRATCH_EN: 0
; COMPUTE_PGM_RSRC2:USER_SGPR: 15
; COMPUTE_PGM_RSRC2:TRAP_HANDLER: 0
; COMPUTE_PGM_RSRC2:TGID_X_EN: 1
; COMPUTE_PGM_RSRC2:TGID_Y_EN: 0
; COMPUTE_PGM_RSRC2:TGID_Z_EN: 0
; COMPUTE_PGM_RSRC2:TIDIG_COMP_CNT: 0
	.section	.text._Z24warp_reduce_valid_kernelIfLj1ELj61EENSt9enable_ifIXntsr10test_utilsE35device_test_enabled_for_warp_size_vIXT1_EEEvE4typeEPT_S4_i,"axG",@progbits,_Z24warp_reduce_valid_kernelIfLj1ELj61EENSt9enable_ifIXntsr10test_utilsE35device_test_enabled_for_warp_size_vIXT1_EEEvE4typeEPT_S4_i,comdat
	.protected	_Z24warp_reduce_valid_kernelIfLj1ELj61EENSt9enable_ifIXntsr10test_utilsE35device_test_enabled_for_warp_size_vIXT1_EEEvE4typeEPT_S4_i ; -- Begin function _Z24warp_reduce_valid_kernelIfLj1ELj61EENSt9enable_ifIXntsr10test_utilsE35device_test_enabled_for_warp_size_vIXT1_EEEvE4typeEPT_S4_i
	.globl	_Z24warp_reduce_valid_kernelIfLj1ELj61EENSt9enable_ifIXntsr10test_utilsE35device_test_enabled_for_warp_size_vIXT1_EEEvE4typeEPT_S4_i
	.p2align	8
	.type	_Z24warp_reduce_valid_kernelIfLj1ELj61EENSt9enable_ifIXntsr10test_utilsE35device_test_enabled_for_warp_size_vIXT1_EEEvE4typeEPT_S4_i,@function
_Z24warp_reduce_valid_kernelIfLj1ELj61EENSt9enable_ifIXntsr10test_utilsE35device_test_enabled_for_warp_size_vIXT1_EEEvE4typeEPT_S4_i: ; @_Z24warp_reduce_valid_kernelIfLj1ELj61EENSt9enable_ifIXntsr10test_utilsE35device_test_enabled_for_warp_size_vIXT1_EEEvE4typeEPT_S4_i
; %bb.0:
	s_endpgm
	.section	.rodata,"a",@progbits
	.p2align	6, 0x0
	.amdhsa_kernel _Z24warp_reduce_valid_kernelIfLj1ELj61EENSt9enable_ifIXntsr10test_utilsE35device_test_enabled_for_warp_size_vIXT1_EEEvE4typeEPT_S4_i
		.amdhsa_group_segment_fixed_size 0
		.amdhsa_private_segment_fixed_size 0
		.amdhsa_kernarg_size 20
		.amdhsa_user_sgpr_count 15
		.amdhsa_user_sgpr_dispatch_ptr 0
		.amdhsa_user_sgpr_queue_ptr 0
		.amdhsa_user_sgpr_kernarg_segment_ptr 1
		.amdhsa_user_sgpr_dispatch_id 0
		.amdhsa_user_sgpr_private_segment_size 0
		.amdhsa_wavefront_size32 1
		.amdhsa_uses_dynamic_stack 0
		.amdhsa_enable_private_segment 0
		.amdhsa_system_sgpr_workgroup_id_x 1
		.amdhsa_system_sgpr_workgroup_id_y 0
		.amdhsa_system_sgpr_workgroup_id_z 0
		.amdhsa_system_sgpr_workgroup_info 0
		.amdhsa_system_vgpr_workitem_id 0
		.amdhsa_next_free_vgpr 1
		.amdhsa_next_free_sgpr 1
		.amdhsa_reserve_vcc 0
		.amdhsa_float_round_mode_32 0
		.amdhsa_float_round_mode_16_64 0
		.amdhsa_float_denorm_mode_32 3
		.amdhsa_float_denorm_mode_16_64 3
		.amdhsa_dx10_clamp 1
		.amdhsa_ieee_mode 1
		.amdhsa_fp16_overflow 0
		.amdhsa_workgroup_processor_mode 1
		.amdhsa_memory_ordered 1
		.amdhsa_forward_progress 0
		.amdhsa_shared_vgpr_count 0
		.amdhsa_exception_fp_ieee_invalid_op 0
		.amdhsa_exception_fp_denorm_src 0
		.amdhsa_exception_fp_ieee_div_zero 0
		.amdhsa_exception_fp_ieee_overflow 0
		.amdhsa_exception_fp_ieee_underflow 0
		.amdhsa_exception_fp_ieee_inexact 0
		.amdhsa_exception_int_div_zero 0
	.end_amdhsa_kernel
	.section	.text._Z24warp_reduce_valid_kernelIfLj1ELj61EENSt9enable_ifIXntsr10test_utilsE35device_test_enabled_for_warp_size_vIXT1_EEEvE4typeEPT_S4_i,"axG",@progbits,_Z24warp_reduce_valid_kernelIfLj1ELj61EENSt9enable_ifIXntsr10test_utilsE35device_test_enabled_for_warp_size_vIXT1_EEEvE4typeEPT_S4_i,comdat
.Lfunc_end64:
	.size	_Z24warp_reduce_valid_kernelIfLj1ELj61EENSt9enable_ifIXntsr10test_utilsE35device_test_enabled_for_warp_size_vIXT1_EEEvE4typeEPT_S4_i, .Lfunc_end64-_Z24warp_reduce_valid_kernelIfLj1ELj61EENSt9enable_ifIXntsr10test_utilsE35device_test_enabled_for_warp_size_vIXT1_EEEvE4typeEPT_S4_i
                                        ; -- End function
	.section	.AMDGPU.csdata,"",@progbits
; Kernel info:
; codeLenInByte = 4
; NumSgprs: 0
; NumVgprs: 0
; ScratchSize: 0
; MemoryBound: 0
; FloatMode: 240
; IeeeMode: 1
; LDSByteSize: 0 bytes/workgroup (compile time only)
; SGPRBlocks: 0
; VGPRBlocks: 0
; NumSGPRsForWavesPerEU: 1
; NumVGPRsForWavesPerEU: 1
; Occupancy: 16
; WaveLimiterHint : 0
; COMPUTE_PGM_RSRC2:SCRATCH_EN: 0
; COMPUTE_PGM_RSRC2:USER_SGPR: 15
; COMPUTE_PGM_RSRC2:TRAP_HANDLER: 0
; COMPUTE_PGM_RSRC2:TGID_X_EN: 1
; COMPUTE_PGM_RSRC2:TGID_Y_EN: 0
; COMPUTE_PGM_RSRC2:TGID_Z_EN: 0
; COMPUTE_PGM_RSRC2:TIDIG_COMP_CNT: 0
	.section	.text._Z24warp_reduce_valid_kernelIfLj61ELj61EENSt9enable_ifIXntsr10test_utilsE35device_test_enabled_for_warp_size_vIXT1_EEEvE4typeEPT_S4_i,"axG",@progbits,_Z24warp_reduce_valid_kernelIfLj61ELj61EENSt9enable_ifIXntsr10test_utilsE35device_test_enabled_for_warp_size_vIXT1_EEEvE4typeEPT_S4_i,comdat
	.protected	_Z24warp_reduce_valid_kernelIfLj61ELj61EENSt9enable_ifIXntsr10test_utilsE35device_test_enabled_for_warp_size_vIXT1_EEEvE4typeEPT_S4_i ; -- Begin function _Z24warp_reduce_valid_kernelIfLj61ELj61EENSt9enable_ifIXntsr10test_utilsE35device_test_enabled_for_warp_size_vIXT1_EEEvE4typeEPT_S4_i
	.globl	_Z24warp_reduce_valid_kernelIfLj61ELj61EENSt9enable_ifIXntsr10test_utilsE35device_test_enabled_for_warp_size_vIXT1_EEEvE4typeEPT_S4_i
	.p2align	8
	.type	_Z24warp_reduce_valid_kernelIfLj61ELj61EENSt9enable_ifIXntsr10test_utilsE35device_test_enabled_for_warp_size_vIXT1_EEEvE4typeEPT_S4_i,@function
_Z24warp_reduce_valid_kernelIfLj61ELj61EENSt9enable_ifIXntsr10test_utilsE35device_test_enabled_for_warp_size_vIXT1_EEEvE4typeEPT_S4_i: ; @_Z24warp_reduce_valid_kernelIfLj61ELj61EENSt9enable_ifIXntsr10test_utilsE35device_test_enabled_for_warp_size_vIXT1_EEEvE4typeEPT_S4_i
; %bb.0:
	s_endpgm
	.section	.rodata,"a",@progbits
	.p2align	6, 0x0
	.amdhsa_kernel _Z24warp_reduce_valid_kernelIfLj61ELj61EENSt9enable_ifIXntsr10test_utilsE35device_test_enabled_for_warp_size_vIXT1_EEEvE4typeEPT_S4_i
		.amdhsa_group_segment_fixed_size 0
		.amdhsa_private_segment_fixed_size 0
		.amdhsa_kernarg_size 20
		.amdhsa_user_sgpr_count 15
		.amdhsa_user_sgpr_dispatch_ptr 0
		.amdhsa_user_sgpr_queue_ptr 0
		.amdhsa_user_sgpr_kernarg_segment_ptr 1
		.amdhsa_user_sgpr_dispatch_id 0
		.amdhsa_user_sgpr_private_segment_size 0
		.amdhsa_wavefront_size32 1
		.amdhsa_uses_dynamic_stack 0
		.amdhsa_enable_private_segment 0
		.amdhsa_system_sgpr_workgroup_id_x 1
		.amdhsa_system_sgpr_workgroup_id_y 0
		.amdhsa_system_sgpr_workgroup_id_z 0
		.amdhsa_system_sgpr_workgroup_info 0
		.amdhsa_system_vgpr_workitem_id 0
		.amdhsa_next_free_vgpr 1
		.amdhsa_next_free_sgpr 1
		.amdhsa_reserve_vcc 0
		.amdhsa_float_round_mode_32 0
		.amdhsa_float_round_mode_16_64 0
		.amdhsa_float_denorm_mode_32 3
		.amdhsa_float_denorm_mode_16_64 3
		.amdhsa_dx10_clamp 1
		.amdhsa_ieee_mode 1
		.amdhsa_fp16_overflow 0
		.amdhsa_workgroup_processor_mode 1
		.amdhsa_memory_ordered 1
		.amdhsa_forward_progress 0
		.amdhsa_shared_vgpr_count 0
		.amdhsa_exception_fp_ieee_invalid_op 0
		.amdhsa_exception_fp_denorm_src 0
		.amdhsa_exception_fp_ieee_div_zero 0
		.amdhsa_exception_fp_ieee_overflow 0
		.amdhsa_exception_fp_ieee_underflow 0
		.amdhsa_exception_fp_ieee_inexact 0
		.amdhsa_exception_int_div_zero 0
	.end_amdhsa_kernel
	.section	.text._Z24warp_reduce_valid_kernelIfLj61ELj61EENSt9enable_ifIXntsr10test_utilsE35device_test_enabled_for_warp_size_vIXT1_EEEvE4typeEPT_S4_i,"axG",@progbits,_Z24warp_reduce_valid_kernelIfLj61ELj61EENSt9enable_ifIXntsr10test_utilsE35device_test_enabled_for_warp_size_vIXT1_EEEvE4typeEPT_S4_i,comdat
.Lfunc_end65:
	.size	_Z24warp_reduce_valid_kernelIfLj61ELj61EENSt9enable_ifIXntsr10test_utilsE35device_test_enabled_for_warp_size_vIXT1_EEEvE4typeEPT_S4_i, .Lfunc_end65-_Z24warp_reduce_valid_kernelIfLj61ELj61EENSt9enable_ifIXntsr10test_utilsE35device_test_enabled_for_warp_size_vIXT1_EEEvE4typeEPT_S4_i
                                        ; -- End function
	.section	.AMDGPU.csdata,"",@progbits
; Kernel info:
; codeLenInByte = 4
; NumSgprs: 0
; NumVgprs: 0
; ScratchSize: 0
; MemoryBound: 0
; FloatMode: 240
; IeeeMode: 1
; LDSByteSize: 0 bytes/workgroup (compile time only)
; SGPRBlocks: 0
; VGPRBlocks: 0
; NumSGPRsForWavesPerEU: 1
; NumVGPRsForWavesPerEU: 1
; Occupancy: 16
; WaveLimiterHint : 0
; COMPUTE_PGM_RSRC2:SCRATCH_EN: 0
; COMPUTE_PGM_RSRC2:USER_SGPR: 15
; COMPUTE_PGM_RSRC2:TRAP_HANDLER: 0
; COMPUTE_PGM_RSRC2:TGID_X_EN: 1
; COMPUTE_PGM_RSRC2:TGID_Y_EN: 0
; COMPUTE_PGM_RSRC2:TGID_Z_EN: 0
; COMPUTE_PGM_RSRC2:TIDIG_COMP_CNT: 0
	.section	.text._Z24warp_reduce_valid_kernelIfLj1ELj37EENSt9enable_ifIXntsr10test_utilsE35device_test_enabled_for_warp_size_vIXT1_EEEvE4typeEPT_S4_i,"axG",@progbits,_Z24warp_reduce_valid_kernelIfLj1ELj37EENSt9enable_ifIXntsr10test_utilsE35device_test_enabled_for_warp_size_vIXT1_EEEvE4typeEPT_S4_i,comdat
	.protected	_Z24warp_reduce_valid_kernelIfLj1ELj37EENSt9enable_ifIXntsr10test_utilsE35device_test_enabled_for_warp_size_vIXT1_EEEvE4typeEPT_S4_i ; -- Begin function _Z24warp_reduce_valid_kernelIfLj1ELj37EENSt9enable_ifIXntsr10test_utilsE35device_test_enabled_for_warp_size_vIXT1_EEEvE4typeEPT_S4_i
	.globl	_Z24warp_reduce_valid_kernelIfLj1ELj37EENSt9enable_ifIXntsr10test_utilsE35device_test_enabled_for_warp_size_vIXT1_EEEvE4typeEPT_S4_i
	.p2align	8
	.type	_Z24warp_reduce_valid_kernelIfLj1ELj37EENSt9enable_ifIXntsr10test_utilsE35device_test_enabled_for_warp_size_vIXT1_EEEvE4typeEPT_S4_i,@function
_Z24warp_reduce_valid_kernelIfLj1ELj37EENSt9enable_ifIXntsr10test_utilsE35device_test_enabled_for_warp_size_vIXT1_EEEvE4typeEPT_S4_i: ; @_Z24warp_reduce_valid_kernelIfLj1ELj37EENSt9enable_ifIXntsr10test_utilsE35device_test_enabled_for_warp_size_vIXT1_EEEvE4typeEPT_S4_i
; %bb.0:
	s_endpgm
	.section	.rodata,"a",@progbits
	.p2align	6, 0x0
	.amdhsa_kernel _Z24warp_reduce_valid_kernelIfLj1ELj37EENSt9enable_ifIXntsr10test_utilsE35device_test_enabled_for_warp_size_vIXT1_EEEvE4typeEPT_S4_i
		.amdhsa_group_segment_fixed_size 0
		.amdhsa_private_segment_fixed_size 0
		.amdhsa_kernarg_size 20
		.amdhsa_user_sgpr_count 15
		.amdhsa_user_sgpr_dispatch_ptr 0
		.amdhsa_user_sgpr_queue_ptr 0
		.amdhsa_user_sgpr_kernarg_segment_ptr 1
		.amdhsa_user_sgpr_dispatch_id 0
		.amdhsa_user_sgpr_private_segment_size 0
		.amdhsa_wavefront_size32 1
		.amdhsa_uses_dynamic_stack 0
		.amdhsa_enable_private_segment 0
		.amdhsa_system_sgpr_workgroup_id_x 1
		.amdhsa_system_sgpr_workgroup_id_y 0
		.amdhsa_system_sgpr_workgroup_id_z 0
		.amdhsa_system_sgpr_workgroup_info 0
		.amdhsa_system_vgpr_workitem_id 0
		.amdhsa_next_free_vgpr 1
		.amdhsa_next_free_sgpr 1
		.amdhsa_reserve_vcc 0
		.amdhsa_float_round_mode_32 0
		.amdhsa_float_round_mode_16_64 0
		.amdhsa_float_denorm_mode_32 3
		.amdhsa_float_denorm_mode_16_64 3
		.amdhsa_dx10_clamp 1
		.amdhsa_ieee_mode 1
		.amdhsa_fp16_overflow 0
		.amdhsa_workgroup_processor_mode 1
		.amdhsa_memory_ordered 1
		.amdhsa_forward_progress 0
		.amdhsa_shared_vgpr_count 0
		.amdhsa_exception_fp_ieee_invalid_op 0
		.amdhsa_exception_fp_denorm_src 0
		.amdhsa_exception_fp_ieee_div_zero 0
		.amdhsa_exception_fp_ieee_overflow 0
		.amdhsa_exception_fp_ieee_underflow 0
		.amdhsa_exception_fp_ieee_inexact 0
		.amdhsa_exception_int_div_zero 0
	.end_amdhsa_kernel
	.section	.text._Z24warp_reduce_valid_kernelIfLj1ELj37EENSt9enable_ifIXntsr10test_utilsE35device_test_enabled_for_warp_size_vIXT1_EEEvE4typeEPT_S4_i,"axG",@progbits,_Z24warp_reduce_valid_kernelIfLj1ELj37EENSt9enable_ifIXntsr10test_utilsE35device_test_enabled_for_warp_size_vIXT1_EEEvE4typeEPT_S4_i,comdat
.Lfunc_end66:
	.size	_Z24warp_reduce_valid_kernelIfLj1ELj37EENSt9enable_ifIXntsr10test_utilsE35device_test_enabled_for_warp_size_vIXT1_EEEvE4typeEPT_S4_i, .Lfunc_end66-_Z24warp_reduce_valid_kernelIfLj1ELj37EENSt9enable_ifIXntsr10test_utilsE35device_test_enabled_for_warp_size_vIXT1_EEEvE4typeEPT_S4_i
                                        ; -- End function
	.section	.AMDGPU.csdata,"",@progbits
; Kernel info:
; codeLenInByte = 4
; NumSgprs: 0
; NumVgprs: 0
; ScratchSize: 0
; MemoryBound: 0
; FloatMode: 240
; IeeeMode: 1
; LDSByteSize: 0 bytes/workgroup (compile time only)
; SGPRBlocks: 0
; VGPRBlocks: 0
; NumSGPRsForWavesPerEU: 1
; NumVGPRsForWavesPerEU: 1
; Occupancy: 16
; WaveLimiterHint : 0
; COMPUTE_PGM_RSRC2:SCRATCH_EN: 0
; COMPUTE_PGM_RSRC2:USER_SGPR: 15
; COMPUTE_PGM_RSRC2:TRAP_HANDLER: 0
; COMPUTE_PGM_RSRC2:TGID_X_EN: 1
; COMPUTE_PGM_RSRC2:TGID_Y_EN: 0
; COMPUTE_PGM_RSRC2:TGID_Z_EN: 0
; COMPUTE_PGM_RSRC2:TIDIG_COMP_CNT: 0
	.section	.text._Z24warp_reduce_valid_kernelIfLj37ELj37EENSt9enable_ifIXntsr10test_utilsE35device_test_enabled_for_warp_size_vIXT1_EEEvE4typeEPT_S4_i,"axG",@progbits,_Z24warp_reduce_valid_kernelIfLj37ELj37EENSt9enable_ifIXntsr10test_utilsE35device_test_enabled_for_warp_size_vIXT1_EEEvE4typeEPT_S4_i,comdat
	.protected	_Z24warp_reduce_valid_kernelIfLj37ELj37EENSt9enable_ifIXntsr10test_utilsE35device_test_enabled_for_warp_size_vIXT1_EEEvE4typeEPT_S4_i ; -- Begin function _Z24warp_reduce_valid_kernelIfLj37ELj37EENSt9enable_ifIXntsr10test_utilsE35device_test_enabled_for_warp_size_vIXT1_EEEvE4typeEPT_S4_i
	.globl	_Z24warp_reduce_valid_kernelIfLj37ELj37EENSt9enable_ifIXntsr10test_utilsE35device_test_enabled_for_warp_size_vIXT1_EEEvE4typeEPT_S4_i
	.p2align	8
	.type	_Z24warp_reduce_valid_kernelIfLj37ELj37EENSt9enable_ifIXntsr10test_utilsE35device_test_enabled_for_warp_size_vIXT1_EEEvE4typeEPT_S4_i,@function
_Z24warp_reduce_valid_kernelIfLj37ELj37EENSt9enable_ifIXntsr10test_utilsE35device_test_enabled_for_warp_size_vIXT1_EEEvE4typeEPT_S4_i: ; @_Z24warp_reduce_valid_kernelIfLj37ELj37EENSt9enable_ifIXntsr10test_utilsE35device_test_enabled_for_warp_size_vIXT1_EEEvE4typeEPT_S4_i
; %bb.0:
	s_endpgm
	.section	.rodata,"a",@progbits
	.p2align	6, 0x0
	.amdhsa_kernel _Z24warp_reduce_valid_kernelIfLj37ELj37EENSt9enable_ifIXntsr10test_utilsE35device_test_enabled_for_warp_size_vIXT1_EEEvE4typeEPT_S4_i
		.amdhsa_group_segment_fixed_size 0
		.amdhsa_private_segment_fixed_size 0
		.amdhsa_kernarg_size 20
		.amdhsa_user_sgpr_count 15
		.amdhsa_user_sgpr_dispatch_ptr 0
		.amdhsa_user_sgpr_queue_ptr 0
		.amdhsa_user_sgpr_kernarg_segment_ptr 1
		.amdhsa_user_sgpr_dispatch_id 0
		.amdhsa_user_sgpr_private_segment_size 0
		.amdhsa_wavefront_size32 1
		.amdhsa_uses_dynamic_stack 0
		.amdhsa_enable_private_segment 0
		.amdhsa_system_sgpr_workgroup_id_x 1
		.amdhsa_system_sgpr_workgroup_id_y 0
		.amdhsa_system_sgpr_workgroup_id_z 0
		.amdhsa_system_sgpr_workgroup_info 0
		.amdhsa_system_vgpr_workitem_id 0
		.amdhsa_next_free_vgpr 1
		.amdhsa_next_free_sgpr 1
		.amdhsa_reserve_vcc 0
		.amdhsa_float_round_mode_32 0
		.amdhsa_float_round_mode_16_64 0
		.amdhsa_float_denorm_mode_32 3
		.amdhsa_float_denorm_mode_16_64 3
		.amdhsa_dx10_clamp 1
		.amdhsa_ieee_mode 1
		.amdhsa_fp16_overflow 0
		.amdhsa_workgroup_processor_mode 1
		.amdhsa_memory_ordered 1
		.amdhsa_forward_progress 0
		.amdhsa_shared_vgpr_count 0
		.amdhsa_exception_fp_ieee_invalid_op 0
		.amdhsa_exception_fp_denorm_src 0
		.amdhsa_exception_fp_ieee_div_zero 0
		.amdhsa_exception_fp_ieee_overflow 0
		.amdhsa_exception_fp_ieee_underflow 0
		.amdhsa_exception_fp_ieee_inexact 0
		.amdhsa_exception_int_div_zero 0
	.end_amdhsa_kernel
	.section	.text._Z24warp_reduce_valid_kernelIfLj37ELj37EENSt9enable_ifIXntsr10test_utilsE35device_test_enabled_for_warp_size_vIXT1_EEEvE4typeEPT_S4_i,"axG",@progbits,_Z24warp_reduce_valid_kernelIfLj37ELj37EENSt9enable_ifIXntsr10test_utilsE35device_test_enabled_for_warp_size_vIXT1_EEEvE4typeEPT_S4_i,comdat
.Lfunc_end67:
	.size	_Z24warp_reduce_valid_kernelIfLj37ELj37EENSt9enable_ifIXntsr10test_utilsE35device_test_enabled_for_warp_size_vIXT1_EEEvE4typeEPT_S4_i, .Lfunc_end67-_Z24warp_reduce_valid_kernelIfLj37ELj37EENSt9enable_ifIXntsr10test_utilsE35device_test_enabled_for_warp_size_vIXT1_EEEvE4typeEPT_S4_i
                                        ; -- End function
	.section	.AMDGPU.csdata,"",@progbits
; Kernel info:
; codeLenInByte = 4
; NumSgprs: 0
; NumVgprs: 0
; ScratchSize: 0
; MemoryBound: 0
; FloatMode: 240
; IeeeMode: 1
; LDSByteSize: 0 bytes/workgroup (compile time only)
; SGPRBlocks: 0
; VGPRBlocks: 0
; NumSGPRsForWavesPerEU: 1
; NumVGPRsForWavesPerEU: 1
; Occupancy: 16
; WaveLimiterHint : 0
; COMPUTE_PGM_RSRC2:SCRATCH_EN: 0
; COMPUTE_PGM_RSRC2:USER_SGPR: 15
; COMPUTE_PGM_RSRC2:TRAP_HANDLER: 0
; COMPUTE_PGM_RSRC2:TGID_X_EN: 1
; COMPUTE_PGM_RSRC2:TGID_Y_EN: 0
; COMPUTE_PGM_RSRC2:TGID_Z_EN: 0
; COMPUTE_PGM_RSRC2:TIDIG_COMP_CNT: 0
	.section	.text._Z24warp_reduce_valid_kernelIfLj30ELj15EENSt9enable_ifIXsr10test_utilsE35device_test_enabled_for_warp_size_vIXT1_EEEvE4typeEPT_S4_i,"axG",@progbits,_Z24warp_reduce_valid_kernelIfLj30ELj15EENSt9enable_ifIXsr10test_utilsE35device_test_enabled_for_warp_size_vIXT1_EEEvE4typeEPT_S4_i,comdat
	.protected	_Z24warp_reduce_valid_kernelIfLj30ELj15EENSt9enable_ifIXsr10test_utilsE35device_test_enabled_for_warp_size_vIXT1_EEEvE4typeEPT_S4_i ; -- Begin function _Z24warp_reduce_valid_kernelIfLj30ELj15EENSt9enable_ifIXsr10test_utilsE35device_test_enabled_for_warp_size_vIXT1_EEEvE4typeEPT_S4_i
	.globl	_Z24warp_reduce_valid_kernelIfLj30ELj15EENSt9enable_ifIXsr10test_utilsE35device_test_enabled_for_warp_size_vIXT1_EEEvE4typeEPT_S4_i
	.p2align	8
	.type	_Z24warp_reduce_valid_kernelIfLj30ELj15EENSt9enable_ifIXsr10test_utilsE35device_test_enabled_for_warp_size_vIXT1_EEEvE4typeEPT_S4_i,@function
_Z24warp_reduce_valid_kernelIfLj30ELj15EENSt9enable_ifIXsr10test_utilsE35device_test_enabled_for_warp_size_vIXT1_EEEvE4typeEPT_S4_i: ; @_Z24warp_reduce_valid_kernelIfLj30ELj15EENSt9enable_ifIXsr10test_utilsE35device_test_enabled_for_warp_size_vIXT1_EEEvE4typeEPT_S4_i
; %bb.0:
	s_clause 0x2
	s_load_b32 s2, s[0:1], 0x24
	s_load_b128 s[4:7], s[0:1], 0x0
	s_load_b32 s1, s[0:1], 0x10
	v_mul_u32_u24_e32 v6, 0x1112, v0
	s_waitcnt lgkmcnt(0)
	s_and_b32 s2, s2, 0xffff
	s_delay_alu instid0(SALU_CYCLE_1) | instskip(SKIP_1) | instid1(VALU_DEP_1)
	v_mad_u64_u32 v[1:2], null, s15, s2, v[0:1]
	v_mov_b32_e32 v2, 0
	v_lshlrev_b64 v[2:3], 2, v[1:2]
	s_delay_alu instid0(VALU_DEP_1) | instskip(NEXT) | instid1(VALU_DEP_2)
	v_add_co_u32 v2, vcc_lo, s4, v2
	v_add_co_ci_u32_e32 v3, vcc_lo, s5, v3, vcc_lo
	global_load_b32 v2, v[2:3], off
	v_mbcnt_lo_u32_b32 v3, -1, 0
	s_delay_alu instid0(VALU_DEP_1) | instskip(NEXT) | instid1(VALU_DEP_1)
	v_mul_hi_u32 v4, 0x11111112, v3
	v_mul_u32_u24_e32 v4, 15, v4
	s_delay_alu instid0(VALU_DEP_1) | instskip(SKIP_1) | instid1(VALU_DEP_2)
	v_sub_nc_u32_e32 v5, v3, v4
	v_lshrrev_b32_e32 v3, 16, v6
	v_add_nc_u32_e32 v4, 8, v5
	v_lshlrev_b32_e32 v6, 2, v5
	v_cmp_gt_u32_e32 vcc_lo, 7, v5
	s_delay_alu instid0(VALU_DEP_3) | instskip(NEXT) | instid1(VALU_DEP_3)
	v_cmp_gt_u32_e64 s0, s1, v4
	v_mad_u32_u24 v4, v3, 60, v6
	s_delay_alu instid0(VALU_DEP_2)
	s_and_b32 s0, vcc_lo, s0
	s_waitcnt vmcnt(0)
	ds_store_b32 v4, v2
	; wave barrier
	s_and_saveexec_b32 s2, s0
	s_cbranch_execz .LBB68_2
; %bb.1:
	ds_load_2addr_b32 v[6:7], v4 offset1:8
	s_waitcnt lgkmcnt(0)
	v_add_f32_e32 v2, v6, v7
.LBB68_2:
	s_or_b32 exec_lo, exec_lo, s2
	; wave barrier
	s_and_saveexec_b32 s2, s0
	s_cbranch_execz .LBB68_4
; %bb.3:
	ds_store_b32 v4, v2
.LBB68_4:
	s_or_b32 exec_lo, exec_lo, s2
	v_add_nc_u32_e32 v6, 4, v5
	v_cmp_gt_u32_e32 vcc_lo, 4, v5
	; wave barrier
	s_delay_alu instid0(VALU_DEP_2) | instskip(NEXT) | instid1(VALU_DEP_1)
	v_cmp_gt_u32_e64 s0, s1, v6
	s_and_b32 s0, vcc_lo, s0
	s_delay_alu instid0(SALU_CYCLE_1)
	s_and_saveexec_b32 s2, s0
	s_cbranch_execz .LBB68_6
; %bb.5:
	ds_load_2addr_b32 v[6:7], v4 offset1:4
	s_waitcnt lgkmcnt(0)
	v_add_f32_e32 v2, v6, v7
.LBB68_6:
	s_or_b32 exec_lo, exec_lo, s2
	; wave barrier
	s_and_saveexec_b32 s2, s0
	s_cbranch_execz .LBB68_8
; %bb.7:
	ds_store_b32 v4, v2
.LBB68_8:
	s_or_b32 exec_lo, exec_lo, s2
	v_add_nc_u32_e32 v6, 2, v5
	v_cmp_gt_u32_e32 vcc_lo, 2, v5
	; wave barrier
	s_delay_alu instid0(VALU_DEP_2) | instskip(NEXT) | instid1(VALU_DEP_1)
	v_cmp_gt_u32_e64 s0, s1, v6
	s_and_b32 s0, vcc_lo, s0
	s_delay_alu instid0(SALU_CYCLE_1)
	s_and_saveexec_b32 s2, s0
	s_cbranch_execz .LBB68_10
; %bb.9:
	ds_load_2addr_b32 v[6:7], v4 offset1:2
	s_waitcnt lgkmcnt(0)
	v_add_f32_e32 v2, v6, v7
.LBB68_10:
	s_or_b32 exec_lo, exec_lo, s2
	; wave barrier
	s_and_saveexec_b32 s2, s0
	s_cbranch_execz .LBB68_12
; %bb.11:
	ds_store_b32 v4, v2
.LBB68_12:
	s_or_b32 exec_lo, exec_lo, s2
	v_add_nc_u32_e32 v6, 1, v5
	v_cmp_eq_u32_e32 vcc_lo, 0, v5
	; wave barrier
	s_delay_alu instid0(VALU_DEP_2) | instskip(NEXT) | instid1(VALU_DEP_1)
	v_cmp_gt_u32_e64 s0, s1, v6
	s_and_b32 s0, vcc_lo, s0
	s_delay_alu instid0(SALU_CYCLE_1)
	s_and_saveexec_b32 s1, s0
	s_cbranch_execz .LBB68_14
; %bb.13:
	v_mul_u32_u24_e32 v2, 60, v3
	ds_load_b32 v5, v4
	ds_load_b32 v2, v2 offset:4
	s_waitcnt lgkmcnt(0)
	v_add_f32_e32 v2, v5, v2
.LBB68_14:
	s_or_b32 exec_lo, exec_lo, s1
	; wave barrier
	s_and_saveexec_b32 s1, s0
	s_cbranch_execz .LBB68_16
; %bb.15:
	ds_store_b32 v4, v2
.LBB68_16:
	s_or_b32 exec_lo, exec_lo, s1
	v_mul_lo_u16 v3, v3, 15
	; wave barrier
	s_mov_b32 s0, exec_lo
	s_delay_alu instid0(VALU_DEP_1) | instskip(NEXT) | instid1(VALU_DEP_1)
	v_sub_nc_u16 v0, v0, v3
	v_cmpx_eq_u16_e32 0, v0
	s_cbranch_execz .LBB68_18
; %bb.17:
	v_mul_hi_u32 v0, 0x88888889, v1
	s_delay_alu instid0(VALU_DEP_1) | instskip(NEXT) | instid1(VALU_DEP_1)
	v_lshrrev_b32_e32 v0, 1, v0
	v_and_b32_e32 v0, 0x7ffffffc, v0
	global_store_b32 v0, v2, s[6:7]
.LBB68_18:
	s_nop 0
	s_sendmsg sendmsg(MSG_DEALLOC_VGPRS)
	s_endpgm
	.section	.rodata,"a",@progbits
	.p2align	6, 0x0
	.amdhsa_kernel _Z24warp_reduce_valid_kernelIfLj30ELj15EENSt9enable_ifIXsr10test_utilsE35device_test_enabled_for_warp_size_vIXT1_EEEvE4typeEPT_S4_i
		.amdhsa_group_segment_fixed_size 120
		.amdhsa_private_segment_fixed_size 0
		.amdhsa_kernarg_size 280
		.amdhsa_user_sgpr_count 15
		.amdhsa_user_sgpr_dispatch_ptr 0
		.amdhsa_user_sgpr_queue_ptr 0
		.amdhsa_user_sgpr_kernarg_segment_ptr 1
		.amdhsa_user_sgpr_dispatch_id 0
		.amdhsa_user_sgpr_private_segment_size 0
		.amdhsa_wavefront_size32 1
		.amdhsa_uses_dynamic_stack 0
		.amdhsa_enable_private_segment 0
		.amdhsa_system_sgpr_workgroup_id_x 1
		.amdhsa_system_sgpr_workgroup_id_y 0
		.amdhsa_system_sgpr_workgroup_id_z 0
		.amdhsa_system_sgpr_workgroup_info 0
		.amdhsa_system_vgpr_workitem_id 0
		.amdhsa_next_free_vgpr 8
		.amdhsa_next_free_sgpr 16
		.amdhsa_reserve_vcc 1
		.amdhsa_float_round_mode_32 0
		.amdhsa_float_round_mode_16_64 0
		.amdhsa_float_denorm_mode_32 3
		.amdhsa_float_denorm_mode_16_64 3
		.amdhsa_dx10_clamp 1
		.amdhsa_ieee_mode 1
		.amdhsa_fp16_overflow 0
		.amdhsa_workgroup_processor_mode 1
		.amdhsa_memory_ordered 1
		.amdhsa_forward_progress 0
		.amdhsa_shared_vgpr_count 0
		.amdhsa_exception_fp_ieee_invalid_op 0
		.amdhsa_exception_fp_denorm_src 0
		.amdhsa_exception_fp_ieee_div_zero 0
		.amdhsa_exception_fp_ieee_overflow 0
		.amdhsa_exception_fp_ieee_underflow 0
		.amdhsa_exception_fp_ieee_inexact 0
		.amdhsa_exception_int_div_zero 0
	.end_amdhsa_kernel
	.section	.text._Z24warp_reduce_valid_kernelIfLj30ELj15EENSt9enable_ifIXsr10test_utilsE35device_test_enabled_for_warp_size_vIXT1_EEEvE4typeEPT_S4_i,"axG",@progbits,_Z24warp_reduce_valid_kernelIfLj30ELj15EENSt9enable_ifIXsr10test_utilsE35device_test_enabled_for_warp_size_vIXT1_EEEvE4typeEPT_S4_i,comdat
.Lfunc_end68:
	.size	_Z24warp_reduce_valid_kernelIfLj30ELj15EENSt9enable_ifIXsr10test_utilsE35device_test_enabled_for_warp_size_vIXT1_EEEvE4typeEPT_S4_i, .Lfunc_end68-_Z24warp_reduce_valid_kernelIfLj30ELj15EENSt9enable_ifIXsr10test_utilsE35device_test_enabled_for_warp_size_vIXT1_EEEvE4typeEPT_S4_i
                                        ; -- End function
	.section	.AMDGPU.csdata,"",@progbits
; Kernel info:
; codeLenInByte = 556
; NumSgprs: 18
; NumVgprs: 8
; ScratchSize: 0
; MemoryBound: 0
; FloatMode: 240
; IeeeMode: 1
; LDSByteSize: 120 bytes/workgroup (compile time only)
; SGPRBlocks: 2
; VGPRBlocks: 0
; NumSGPRsForWavesPerEU: 18
; NumVGPRsForWavesPerEU: 8
; Occupancy: 16
; WaveLimiterHint : 0
; COMPUTE_PGM_RSRC2:SCRATCH_EN: 0
; COMPUTE_PGM_RSRC2:USER_SGPR: 15
; COMPUTE_PGM_RSRC2:TRAP_HANDLER: 0
; COMPUTE_PGM_RSRC2:TGID_X_EN: 1
; COMPUTE_PGM_RSRC2:TGID_Y_EN: 0
; COMPUTE_PGM_RSRC2:TGID_Z_EN: 0
; COMPUTE_PGM_RSRC2:TIDIG_COMP_CNT: 0
	.section	.text._Z24warp_reduce_valid_kernelIfLj60ELj15EENSt9enable_ifIXsr10test_utilsE35device_test_enabled_for_warp_size_vIXT1_EEEvE4typeEPT_S4_i,"axG",@progbits,_Z24warp_reduce_valid_kernelIfLj60ELj15EENSt9enable_ifIXsr10test_utilsE35device_test_enabled_for_warp_size_vIXT1_EEEvE4typeEPT_S4_i,comdat
	.protected	_Z24warp_reduce_valid_kernelIfLj60ELj15EENSt9enable_ifIXsr10test_utilsE35device_test_enabled_for_warp_size_vIXT1_EEEvE4typeEPT_S4_i ; -- Begin function _Z24warp_reduce_valid_kernelIfLj60ELj15EENSt9enable_ifIXsr10test_utilsE35device_test_enabled_for_warp_size_vIXT1_EEEvE4typeEPT_S4_i
	.globl	_Z24warp_reduce_valid_kernelIfLj60ELj15EENSt9enable_ifIXsr10test_utilsE35device_test_enabled_for_warp_size_vIXT1_EEEvE4typeEPT_S4_i
	.p2align	8
	.type	_Z24warp_reduce_valid_kernelIfLj60ELj15EENSt9enable_ifIXsr10test_utilsE35device_test_enabled_for_warp_size_vIXT1_EEEvE4typeEPT_S4_i,@function
_Z24warp_reduce_valid_kernelIfLj60ELj15EENSt9enable_ifIXsr10test_utilsE35device_test_enabled_for_warp_size_vIXT1_EEEvE4typeEPT_S4_i: ; @_Z24warp_reduce_valid_kernelIfLj60ELj15EENSt9enable_ifIXsr10test_utilsE35device_test_enabled_for_warp_size_vIXT1_EEEvE4typeEPT_S4_i
; %bb.0:
	s_clause 0x2
	s_load_b32 s2, s[0:1], 0x24
	s_load_b128 s[4:7], s[0:1], 0x0
	s_load_b32 s1, s[0:1], 0x10
	v_mul_u32_u24_e32 v6, 0x1112, v0
	s_waitcnt lgkmcnt(0)
	s_and_b32 s2, s2, 0xffff
	s_delay_alu instid0(SALU_CYCLE_1) | instskip(SKIP_1) | instid1(VALU_DEP_1)
	v_mad_u64_u32 v[1:2], null, s15, s2, v[0:1]
	v_mov_b32_e32 v2, 0
	v_lshlrev_b64 v[2:3], 2, v[1:2]
	s_delay_alu instid0(VALU_DEP_1) | instskip(NEXT) | instid1(VALU_DEP_2)
	v_add_co_u32 v2, vcc_lo, s4, v2
	v_add_co_ci_u32_e32 v3, vcc_lo, s5, v3, vcc_lo
	global_load_b32 v2, v[2:3], off
	v_mbcnt_lo_u32_b32 v3, -1, 0
	s_delay_alu instid0(VALU_DEP_1) | instskip(NEXT) | instid1(VALU_DEP_1)
	v_mul_hi_u32 v4, 0x11111112, v3
	v_mul_u32_u24_e32 v4, 15, v4
	s_delay_alu instid0(VALU_DEP_1) | instskip(SKIP_1) | instid1(VALU_DEP_2)
	v_sub_nc_u32_e32 v5, v3, v4
	v_lshrrev_b32_e32 v3, 16, v6
	v_add_nc_u32_e32 v4, 8, v5
	v_lshlrev_b32_e32 v6, 2, v5
	v_cmp_gt_u32_e32 vcc_lo, 7, v5
	s_delay_alu instid0(VALU_DEP_3) | instskip(NEXT) | instid1(VALU_DEP_3)
	v_cmp_gt_u32_e64 s0, s1, v4
	v_mad_u32_u24 v4, v3, 60, v6
	s_delay_alu instid0(VALU_DEP_2)
	s_and_b32 s0, vcc_lo, s0
	s_waitcnt vmcnt(0)
	ds_store_b32 v4, v2
	; wave barrier
	s_and_saveexec_b32 s2, s0
	s_cbranch_execz .LBB69_2
; %bb.1:
	ds_load_2addr_b32 v[6:7], v4 offset1:8
	s_waitcnt lgkmcnt(0)
	v_add_f32_e32 v2, v6, v7
.LBB69_2:
	s_or_b32 exec_lo, exec_lo, s2
	; wave barrier
	s_and_saveexec_b32 s2, s0
	s_cbranch_execz .LBB69_4
; %bb.3:
	ds_store_b32 v4, v2
.LBB69_4:
	s_or_b32 exec_lo, exec_lo, s2
	v_add_nc_u32_e32 v6, 4, v5
	v_cmp_gt_u32_e32 vcc_lo, 4, v5
	; wave barrier
	s_delay_alu instid0(VALU_DEP_2) | instskip(NEXT) | instid1(VALU_DEP_1)
	v_cmp_gt_u32_e64 s0, s1, v6
	s_and_b32 s0, vcc_lo, s0
	s_delay_alu instid0(SALU_CYCLE_1)
	s_and_saveexec_b32 s2, s0
	s_cbranch_execz .LBB69_6
; %bb.5:
	ds_load_2addr_b32 v[6:7], v4 offset1:4
	s_waitcnt lgkmcnt(0)
	v_add_f32_e32 v2, v6, v7
.LBB69_6:
	s_or_b32 exec_lo, exec_lo, s2
	; wave barrier
	s_and_saveexec_b32 s2, s0
	s_cbranch_execz .LBB69_8
; %bb.7:
	ds_store_b32 v4, v2
.LBB69_8:
	s_or_b32 exec_lo, exec_lo, s2
	v_add_nc_u32_e32 v6, 2, v5
	v_cmp_gt_u32_e32 vcc_lo, 2, v5
	; wave barrier
	s_delay_alu instid0(VALU_DEP_2) | instskip(NEXT) | instid1(VALU_DEP_1)
	v_cmp_gt_u32_e64 s0, s1, v6
	s_and_b32 s0, vcc_lo, s0
	s_delay_alu instid0(SALU_CYCLE_1)
	s_and_saveexec_b32 s2, s0
	s_cbranch_execz .LBB69_10
; %bb.9:
	ds_load_2addr_b32 v[6:7], v4 offset1:2
	s_waitcnt lgkmcnt(0)
	v_add_f32_e32 v2, v6, v7
.LBB69_10:
	s_or_b32 exec_lo, exec_lo, s2
	; wave barrier
	s_and_saveexec_b32 s2, s0
	s_cbranch_execz .LBB69_12
; %bb.11:
	ds_store_b32 v4, v2
.LBB69_12:
	s_or_b32 exec_lo, exec_lo, s2
	v_add_nc_u32_e32 v6, 1, v5
	v_cmp_eq_u32_e32 vcc_lo, 0, v5
	; wave barrier
	s_delay_alu instid0(VALU_DEP_2) | instskip(NEXT) | instid1(VALU_DEP_1)
	v_cmp_gt_u32_e64 s0, s1, v6
	s_and_b32 s0, vcc_lo, s0
	s_delay_alu instid0(SALU_CYCLE_1)
	s_and_saveexec_b32 s1, s0
	s_cbranch_execz .LBB69_14
; %bb.13:
	v_mul_u32_u24_e32 v2, 60, v3
	ds_load_b32 v5, v4
	ds_load_b32 v2, v2 offset:4
	s_waitcnt lgkmcnt(0)
	v_add_f32_e32 v2, v5, v2
.LBB69_14:
	s_or_b32 exec_lo, exec_lo, s1
	; wave barrier
	s_and_saveexec_b32 s1, s0
	s_cbranch_execz .LBB69_16
; %bb.15:
	ds_store_b32 v4, v2
.LBB69_16:
	s_or_b32 exec_lo, exec_lo, s1
	v_mul_lo_u16 v3, v3, 15
	; wave barrier
	s_mov_b32 s0, exec_lo
	s_delay_alu instid0(VALU_DEP_1) | instskip(NEXT) | instid1(VALU_DEP_1)
	v_sub_nc_u16 v0, v0, v3
	v_cmpx_eq_u16_e32 0, v0
	s_cbranch_execz .LBB69_18
; %bb.17:
	v_mul_hi_u32 v0, 0x88888889, v1
	s_delay_alu instid0(VALU_DEP_1) | instskip(NEXT) | instid1(VALU_DEP_1)
	v_lshrrev_b32_e32 v0, 1, v0
	v_and_b32_e32 v0, 0x7ffffffc, v0
	global_store_b32 v0, v2, s[6:7]
.LBB69_18:
	s_nop 0
	s_sendmsg sendmsg(MSG_DEALLOC_VGPRS)
	s_endpgm
	.section	.rodata,"a",@progbits
	.p2align	6, 0x0
	.amdhsa_kernel _Z24warp_reduce_valid_kernelIfLj60ELj15EENSt9enable_ifIXsr10test_utilsE35device_test_enabled_for_warp_size_vIXT1_EEEvE4typeEPT_S4_i
		.amdhsa_group_segment_fixed_size 240
		.amdhsa_private_segment_fixed_size 0
		.amdhsa_kernarg_size 280
		.amdhsa_user_sgpr_count 15
		.amdhsa_user_sgpr_dispatch_ptr 0
		.amdhsa_user_sgpr_queue_ptr 0
		.amdhsa_user_sgpr_kernarg_segment_ptr 1
		.amdhsa_user_sgpr_dispatch_id 0
		.amdhsa_user_sgpr_private_segment_size 0
		.amdhsa_wavefront_size32 1
		.amdhsa_uses_dynamic_stack 0
		.amdhsa_enable_private_segment 0
		.amdhsa_system_sgpr_workgroup_id_x 1
		.amdhsa_system_sgpr_workgroup_id_y 0
		.amdhsa_system_sgpr_workgroup_id_z 0
		.amdhsa_system_sgpr_workgroup_info 0
		.amdhsa_system_vgpr_workitem_id 0
		.amdhsa_next_free_vgpr 8
		.amdhsa_next_free_sgpr 16
		.amdhsa_reserve_vcc 1
		.amdhsa_float_round_mode_32 0
		.amdhsa_float_round_mode_16_64 0
		.amdhsa_float_denorm_mode_32 3
		.amdhsa_float_denorm_mode_16_64 3
		.amdhsa_dx10_clamp 1
		.amdhsa_ieee_mode 1
		.amdhsa_fp16_overflow 0
		.amdhsa_workgroup_processor_mode 1
		.amdhsa_memory_ordered 1
		.amdhsa_forward_progress 0
		.amdhsa_shared_vgpr_count 0
		.amdhsa_exception_fp_ieee_invalid_op 0
		.amdhsa_exception_fp_denorm_src 0
		.amdhsa_exception_fp_ieee_div_zero 0
		.amdhsa_exception_fp_ieee_overflow 0
		.amdhsa_exception_fp_ieee_underflow 0
		.amdhsa_exception_fp_ieee_inexact 0
		.amdhsa_exception_int_div_zero 0
	.end_amdhsa_kernel
	.section	.text._Z24warp_reduce_valid_kernelIfLj60ELj15EENSt9enable_ifIXsr10test_utilsE35device_test_enabled_for_warp_size_vIXT1_EEEvE4typeEPT_S4_i,"axG",@progbits,_Z24warp_reduce_valid_kernelIfLj60ELj15EENSt9enable_ifIXsr10test_utilsE35device_test_enabled_for_warp_size_vIXT1_EEEvE4typeEPT_S4_i,comdat
.Lfunc_end69:
	.size	_Z24warp_reduce_valid_kernelIfLj60ELj15EENSt9enable_ifIXsr10test_utilsE35device_test_enabled_for_warp_size_vIXT1_EEEvE4typeEPT_S4_i, .Lfunc_end69-_Z24warp_reduce_valid_kernelIfLj60ELj15EENSt9enable_ifIXsr10test_utilsE35device_test_enabled_for_warp_size_vIXT1_EEEvE4typeEPT_S4_i
                                        ; -- End function
	.section	.AMDGPU.csdata,"",@progbits
; Kernel info:
; codeLenInByte = 556
; NumSgprs: 18
; NumVgprs: 8
; ScratchSize: 0
; MemoryBound: 0
; FloatMode: 240
; IeeeMode: 1
; LDSByteSize: 240 bytes/workgroup (compile time only)
; SGPRBlocks: 2
; VGPRBlocks: 0
; NumSGPRsForWavesPerEU: 18
; NumVGPRsForWavesPerEU: 8
; Occupancy: 16
; WaveLimiterHint : 0
; COMPUTE_PGM_RSRC2:SCRATCH_EN: 0
; COMPUTE_PGM_RSRC2:USER_SGPR: 15
; COMPUTE_PGM_RSRC2:TRAP_HANDLER: 0
; COMPUTE_PGM_RSRC2:TGID_X_EN: 1
; COMPUTE_PGM_RSRC2:TGID_Y_EN: 0
; COMPUTE_PGM_RSRC2:TGID_Z_EN: 0
; COMPUTE_PGM_RSRC2:TIDIG_COMP_CNT: 0
	.section	.text._Z24warp_reduce_valid_kernelIfLj28ELj7EENSt9enable_ifIXsr10test_utilsE35device_test_enabled_for_warp_size_vIXT1_EEEvE4typeEPT_S4_i,"axG",@progbits,_Z24warp_reduce_valid_kernelIfLj28ELj7EENSt9enable_ifIXsr10test_utilsE35device_test_enabled_for_warp_size_vIXT1_EEEvE4typeEPT_S4_i,comdat
	.protected	_Z24warp_reduce_valid_kernelIfLj28ELj7EENSt9enable_ifIXsr10test_utilsE35device_test_enabled_for_warp_size_vIXT1_EEEvE4typeEPT_S4_i ; -- Begin function _Z24warp_reduce_valid_kernelIfLj28ELj7EENSt9enable_ifIXsr10test_utilsE35device_test_enabled_for_warp_size_vIXT1_EEEvE4typeEPT_S4_i
	.globl	_Z24warp_reduce_valid_kernelIfLj28ELj7EENSt9enable_ifIXsr10test_utilsE35device_test_enabled_for_warp_size_vIXT1_EEEvE4typeEPT_S4_i
	.p2align	8
	.type	_Z24warp_reduce_valid_kernelIfLj28ELj7EENSt9enable_ifIXsr10test_utilsE35device_test_enabled_for_warp_size_vIXT1_EEEvE4typeEPT_S4_i,@function
_Z24warp_reduce_valid_kernelIfLj28ELj7EENSt9enable_ifIXsr10test_utilsE35device_test_enabled_for_warp_size_vIXT1_EEEvE4typeEPT_S4_i: ; @_Z24warp_reduce_valid_kernelIfLj28ELj7EENSt9enable_ifIXsr10test_utilsE35device_test_enabled_for_warp_size_vIXT1_EEEvE4typeEPT_S4_i
; %bb.0:
	s_clause 0x2
	s_load_b32 s2, s[0:1], 0x24
	s_load_b128 s[4:7], s[0:1], 0x0
	s_load_b32 s1, s[0:1], 0x10
	v_mul_u32_u24_e32 v6, 0x2493, v0
	s_waitcnt lgkmcnt(0)
	s_and_b32 s2, s2, 0xffff
	s_delay_alu instid0(SALU_CYCLE_1) | instskip(SKIP_1) | instid1(VALU_DEP_1)
	v_mad_u64_u32 v[1:2], null, s15, s2, v[0:1]
	v_mov_b32_e32 v2, 0
	v_lshlrev_b64 v[2:3], 2, v[1:2]
	s_delay_alu instid0(VALU_DEP_1) | instskip(NEXT) | instid1(VALU_DEP_2)
	v_add_co_u32 v2, vcc_lo, s4, v2
	v_add_co_ci_u32_e32 v3, vcc_lo, s5, v3, vcc_lo
	global_load_b32 v2, v[2:3], off
	v_mbcnt_lo_u32_b32 v3, -1, 0
	s_delay_alu instid0(VALU_DEP_1) | instskip(NEXT) | instid1(VALU_DEP_1)
	v_mul_hi_u32 v4, 0x24924925, v3
	v_mul_u32_u24_e32 v4, 7, v4
	s_delay_alu instid0(VALU_DEP_1) | instskip(SKIP_1) | instid1(VALU_DEP_2)
	v_sub_nc_u32_e32 v5, v3, v4
	v_lshrrev_b32_e32 v3, 16, v6
	v_add_nc_u32_e32 v4, 4, v5
	v_lshlrev_b32_e32 v6, 2, v5
	v_cmp_gt_u32_e32 vcc_lo, 3, v5
	s_delay_alu instid0(VALU_DEP_3) | instskip(NEXT) | instid1(VALU_DEP_3)
	v_cmp_gt_u32_e64 s0, s1, v4
	v_mad_u32_u24 v4, v3, 28, v6
	s_delay_alu instid0(VALU_DEP_2)
	s_and_b32 s0, vcc_lo, s0
	s_waitcnt vmcnt(0)
	ds_store_b32 v4, v2
	; wave barrier
	s_and_saveexec_b32 s2, s0
	s_cbranch_execz .LBB70_2
; %bb.1:
	ds_load_2addr_b32 v[6:7], v4 offset1:4
	s_waitcnt lgkmcnt(0)
	v_add_f32_e32 v2, v6, v7
.LBB70_2:
	s_or_b32 exec_lo, exec_lo, s2
	; wave barrier
	s_and_saveexec_b32 s2, s0
	s_cbranch_execz .LBB70_4
; %bb.3:
	ds_store_b32 v4, v2
.LBB70_4:
	s_or_b32 exec_lo, exec_lo, s2
	v_add_nc_u32_e32 v6, 2, v5
	v_cmp_gt_u32_e32 vcc_lo, 2, v5
	; wave barrier
	s_delay_alu instid0(VALU_DEP_2) | instskip(NEXT) | instid1(VALU_DEP_1)
	v_cmp_gt_u32_e64 s0, s1, v6
	s_and_b32 s0, vcc_lo, s0
	s_delay_alu instid0(SALU_CYCLE_1)
	s_and_saveexec_b32 s2, s0
	s_cbranch_execz .LBB70_6
; %bb.5:
	ds_load_2addr_b32 v[6:7], v4 offset1:2
	s_waitcnt lgkmcnt(0)
	v_add_f32_e32 v2, v6, v7
.LBB70_6:
	s_or_b32 exec_lo, exec_lo, s2
	; wave barrier
	s_and_saveexec_b32 s2, s0
	s_cbranch_execz .LBB70_8
; %bb.7:
	ds_store_b32 v4, v2
.LBB70_8:
	s_or_b32 exec_lo, exec_lo, s2
	v_add_nc_u32_e32 v6, 1, v5
	v_cmp_eq_u32_e32 vcc_lo, 0, v5
	; wave barrier
	s_delay_alu instid0(VALU_DEP_2) | instskip(NEXT) | instid1(VALU_DEP_1)
	v_cmp_gt_u32_e64 s0, s1, v6
	s_and_b32 s0, vcc_lo, s0
	s_delay_alu instid0(SALU_CYCLE_1)
	s_and_saveexec_b32 s1, s0
	s_cbranch_execz .LBB70_10
; %bb.9:
	v_mul_u32_u24_e32 v2, 28, v3
	ds_load_b32 v5, v4
	ds_load_b32 v2, v2 offset:4
	s_waitcnt lgkmcnt(0)
	v_add_f32_e32 v2, v5, v2
.LBB70_10:
	s_or_b32 exec_lo, exec_lo, s1
	; wave barrier
	s_and_saveexec_b32 s1, s0
	s_cbranch_execz .LBB70_12
; %bb.11:
	ds_store_b32 v4, v2
.LBB70_12:
	s_or_b32 exec_lo, exec_lo, s1
	v_mul_lo_u16 v3, v3, 7
	; wave barrier
	s_mov_b32 s0, exec_lo
	s_delay_alu instid0(VALU_DEP_1) | instskip(NEXT) | instid1(VALU_DEP_1)
	v_sub_nc_u16 v0, v0, v3
	v_cmpx_eq_u16_e32 0, v0
	s_cbranch_execz .LBB70_14
; %bb.13:
	v_mul_hi_u32 v0, 0x24924925, v1
	s_delay_alu instid0(VALU_DEP_1) | instskip(NEXT) | instid1(VALU_DEP_1)
	v_sub_nc_u32_e32 v1, v1, v0
	v_lshrrev_b32_e32 v1, 1, v1
	s_delay_alu instid0(VALU_DEP_1) | instskip(NEXT) | instid1(VALU_DEP_1)
	v_add_nc_u32_e32 v0, v1, v0
	v_and_b32_e32 v0, -4, v0
	global_store_b32 v0, v2, s[6:7]
.LBB70_14:
	s_nop 0
	s_sendmsg sendmsg(MSG_DEALLOC_VGPRS)
	s_endpgm
	.section	.rodata,"a",@progbits
	.p2align	6, 0x0
	.amdhsa_kernel _Z24warp_reduce_valid_kernelIfLj28ELj7EENSt9enable_ifIXsr10test_utilsE35device_test_enabled_for_warp_size_vIXT1_EEEvE4typeEPT_S4_i
		.amdhsa_group_segment_fixed_size 112
		.amdhsa_private_segment_fixed_size 0
		.amdhsa_kernarg_size 280
		.amdhsa_user_sgpr_count 15
		.amdhsa_user_sgpr_dispatch_ptr 0
		.amdhsa_user_sgpr_queue_ptr 0
		.amdhsa_user_sgpr_kernarg_segment_ptr 1
		.amdhsa_user_sgpr_dispatch_id 0
		.amdhsa_user_sgpr_private_segment_size 0
		.amdhsa_wavefront_size32 1
		.amdhsa_uses_dynamic_stack 0
		.amdhsa_enable_private_segment 0
		.amdhsa_system_sgpr_workgroup_id_x 1
		.amdhsa_system_sgpr_workgroup_id_y 0
		.amdhsa_system_sgpr_workgroup_id_z 0
		.amdhsa_system_sgpr_workgroup_info 0
		.amdhsa_system_vgpr_workitem_id 0
		.amdhsa_next_free_vgpr 8
		.amdhsa_next_free_sgpr 16
		.amdhsa_reserve_vcc 1
		.amdhsa_float_round_mode_32 0
		.amdhsa_float_round_mode_16_64 0
		.amdhsa_float_denorm_mode_32 3
		.amdhsa_float_denorm_mode_16_64 3
		.amdhsa_dx10_clamp 1
		.amdhsa_ieee_mode 1
		.amdhsa_fp16_overflow 0
		.amdhsa_workgroup_processor_mode 1
		.amdhsa_memory_ordered 1
		.amdhsa_forward_progress 0
		.amdhsa_shared_vgpr_count 0
		.amdhsa_exception_fp_ieee_invalid_op 0
		.amdhsa_exception_fp_denorm_src 0
		.amdhsa_exception_fp_ieee_div_zero 0
		.amdhsa_exception_fp_ieee_overflow 0
		.amdhsa_exception_fp_ieee_underflow 0
		.amdhsa_exception_fp_ieee_inexact 0
		.amdhsa_exception_int_div_zero 0
	.end_amdhsa_kernel
	.section	.text._Z24warp_reduce_valid_kernelIfLj28ELj7EENSt9enable_ifIXsr10test_utilsE35device_test_enabled_for_warp_size_vIXT1_EEEvE4typeEPT_S4_i,"axG",@progbits,_Z24warp_reduce_valid_kernelIfLj28ELj7EENSt9enable_ifIXsr10test_utilsE35device_test_enabled_for_warp_size_vIXT1_EEEvE4typeEPT_S4_i,comdat
.Lfunc_end70:
	.size	_Z24warp_reduce_valid_kernelIfLj28ELj7EENSt9enable_ifIXsr10test_utilsE35device_test_enabled_for_warp_size_vIXT1_EEEvE4typeEPT_S4_i, .Lfunc_end70-_Z24warp_reduce_valid_kernelIfLj28ELj7EENSt9enable_ifIXsr10test_utilsE35device_test_enabled_for_warp_size_vIXT1_EEEvE4typeEPT_S4_i
                                        ; -- End function
	.section	.AMDGPU.csdata,"",@progbits
; Kernel info:
; codeLenInByte = 488
; NumSgprs: 18
; NumVgprs: 8
; ScratchSize: 0
; MemoryBound: 0
; FloatMode: 240
; IeeeMode: 1
; LDSByteSize: 112 bytes/workgroup (compile time only)
; SGPRBlocks: 2
; VGPRBlocks: 0
; NumSGPRsForWavesPerEU: 18
; NumVGPRsForWavesPerEU: 8
; Occupancy: 16
; WaveLimiterHint : 0
; COMPUTE_PGM_RSRC2:SCRATCH_EN: 0
; COMPUTE_PGM_RSRC2:USER_SGPR: 15
; COMPUTE_PGM_RSRC2:TRAP_HANDLER: 0
; COMPUTE_PGM_RSRC2:TGID_X_EN: 1
; COMPUTE_PGM_RSRC2:TGID_Y_EN: 0
; COMPUTE_PGM_RSRC2:TGID_Z_EN: 0
; COMPUTE_PGM_RSRC2:TIDIG_COMP_CNT: 0
	.section	.text._Z24warp_reduce_valid_kernelIfLj63ELj7EENSt9enable_ifIXsr10test_utilsE35device_test_enabled_for_warp_size_vIXT1_EEEvE4typeEPT_S4_i,"axG",@progbits,_Z24warp_reduce_valid_kernelIfLj63ELj7EENSt9enable_ifIXsr10test_utilsE35device_test_enabled_for_warp_size_vIXT1_EEEvE4typeEPT_S4_i,comdat
	.protected	_Z24warp_reduce_valid_kernelIfLj63ELj7EENSt9enable_ifIXsr10test_utilsE35device_test_enabled_for_warp_size_vIXT1_EEEvE4typeEPT_S4_i ; -- Begin function _Z24warp_reduce_valid_kernelIfLj63ELj7EENSt9enable_ifIXsr10test_utilsE35device_test_enabled_for_warp_size_vIXT1_EEEvE4typeEPT_S4_i
	.globl	_Z24warp_reduce_valid_kernelIfLj63ELj7EENSt9enable_ifIXsr10test_utilsE35device_test_enabled_for_warp_size_vIXT1_EEEvE4typeEPT_S4_i
	.p2align	8
	.type	_Z24warp_reduce_valid_kernelIfLj63ELj7EENSt9enable_ifIXsr10test_utilsE35device_test_enabled_for_warp_size_vIXT1_EEEvE4typeEPT_S4_i,@function
_Z24warp_reduce_valid_kernelIfLj63ELj7EENSt9enable_ifIXsr10test_utilsE35device_test_enabled_for_warp_size_vIXT1_EEEvE4typeEPT_S4_i: ; @_Z24warp_reduce_valid_kernelIfLj63ELj7EENSt9enable_ifIXsr10test_utilsE35device_test_enabled_for_warp_size_vIXT1_EEEvE4typeEPT_S4_i
; %bb.0:
	s_clause 0x2
	s_load_b32 s2, s[0:1], 0x24
	s_load_b128 s[4:7], s[0:1], 0x0
	s_load_b32 s1, s[0:1], 0x10
	v_mul_u32_u24_e32 v6, 0x2493, v0
	s_waitcnt lgkmcnt(0)
	s_and_b32 s2, s2, 0xffff
	s_delay_alu instid0(SALU_CYCLE_1) | instskip(SKIP_1) | instid1(VALU_DEP_1)
	v_mad_u64_u32 v[1:2], null, s15, s2, v[0:1]
	v_mov_b32_e32 v2, 0
	v_lshlrev_b64 v[2:3], 2, v[1:2]
	s_delay_alu instid0(VALU_DEP_1) | instskip(NEXT) | instid1(VALU_DEP_2)
	v_add_co_u32 v2, vcc_lo, s4, v2
	v_add_co_ci_u32_e32 v3, vcc_lo, s5, v3, vcc_lo
	global_load_b32 v2, v[2:3], off
	v_mbcnt_lo_u32_b32 v3, -1, 0
	s_delay_alu instid0(VALU_DEP_1) | instskip(NEXT) | instid1(VALU_DEP_1)
	v_mul_hi_u32 v4, 0x24924925, v3
	v_mul_u32_u24_e32 v4, 7, v4
	s_delay_alu instid0(VALU_DEP_1) | instskip(SKIP_1) | instid1(VALU_DEP_2)
	v_sub_nc_u32_e32 v5, v3, v4
	v_lshrrev_b32_e32 v3, 16, v6
	v_add_nc_u32_e32 v4, 4, v5
	v_lshlrev_b32_e32 v6, 2, v5
	v_cmp_gt_u32_e32 vcc_lo, 3, v5
	s_delay_alu instid0(VALU_DEP_3) | instskip(NEXT) | instid1(VALU_DEP_3)
	v_cmp_gt_u32_e64 s0, s1, v4
	v_mad_u32_u24 v4, v3, 28, v6
	s_delay_alu instid0(VALU_DEP_2)
	s_and_b32 s0, vcc_lo, s0
	s_waitcnt vmcnt(0)
	ds_store_b32 v4, v2
	; wave barrier
	s_and_saveexec_b32 s2, s0
	s_cbranch_execz .LBB71_2
; %bb.1:
	ds_load_2addr_b32 v[6:7], v4 offset1:4
	s_waitcnt lgkmcnt(0)
	v_add_f32_e32 v2, v6, v7
.LBB71_2:
	s_or_b32 exec_lo, exec_lo, s2
	; wave barrier
	s_and_saveexec_b32 s2, s0
	s_cbranch_execz .LBB71_4
; %bb.3:
	ds_store_b32 v4, v2
.LBB71_4:
	s_or_b32 exec_lo, exec_lo, s2
	v_add_nc_u32_e32 v6, 2, v5
	v_cmp_gt_u32_e32 vcc_lo, 2, v5
	; wave barrier
	s_delay_alu instid0(VALU_DEP_2) | instskip(NEXT) | instid1(VALU_DEP_1)
	v_cmp_gt_u32_e64 s0, s1, v6
	s_and_b32 s0, vcc_lo, s0
	s_delay_alu instid0(SALU_CYCLE_1)
	s_and_saveexec_b32 s2, s0
	s_cbranch_execz .LBB71_6
; %bb.5:
	ds_load_2addr_b32 v[6:7], v4 offset1:2
	s_waitcnt lgkmcnt(0)
	v_add_f32_e32 v2, v6, v7
.LBB71_6:
	s_or_b32 exec_lo, exec_lo, s2
	; wave barrier
	s_and_saveexec_b32 s2, s0
	s_cbranch_execz .LBB71_8
; %bb.7:
	ds_store_b32 v4, v2
.LBB71_8:
	s_or_b32 exec_lo, exec_lo, s2
	v_add_nc_u32_e32 v6, 1, v5
	v_cmp_eq_u32_e32 vcc_lo, 0, v5
	; wave barrier
	s_delay_alu instid0(VALU_DEP_2) | instskip(NEXT) | instid1(VALU_DEP_1)
	v_cmp_gt_u32_e64 s0, s1, v6
	s_and_b32 s0, vcc_lo, s0
	s_delay_alu instid0(SALU_CYCLE_1)
	s_and_saveexec_b32 s1, s0
	s_cbranch_execz .LBB71_10
; %bb.9:
	v_mul_u32_u24_e32 v2, 28, v3
	ds_load_b32 v5, v4
	ds_load_b32 v2, v2 offset:4
	s_waitcnt lgkmcnt(0)
	v_add_f32_e32 v2, v5, v2
.LBB71_10:
	s_or_b32 exec_lo, exec_lo, s1
	; wave barrier
	s_and_saveexec_b32 s1, s0
	s_cbranch_execz .LBB71_12
; %bb.11:
	ds_store_b32 v4, v2
.LBB71_12:
	s_or_b32 exec_lo, exec_lo, s1
	v_mul_lo_u16 v3, v3, 7
	; wave barrier
	s_mov_b32 s0, exec_lo
	s_delay_alu instid0(VALU_DEP_1) | instskip(NEXT) | instid1(VALU_DEP_1)
	v_sub_nc_u16 v0, v0, v3
	v_cmpx_eq_u16_e32 0, v0
	s_cbranch_execz .LBB71_14
; %bb.13:
	v_mul_hi_u32 v0, 0x24924925, v1
	s_delay_alu instid0(VALU_DEP_1) | instskip(NEXT) | instid1(VALU_DEP_1)
	v_sub_nc_u32_e32 v1, v1, v0
	v_lshrrev_b32_e32 v1, 1, v1
	s_delay_alu instid0(VALU_DEP_1) | instskip(NEXT) | instid1(VALU_DEP_1)
	v_add_nc_u32_e32 v0, v1, v0
	v_and_b32_e32 v0, -4, v0
	global_store_b32 v0, v2, s[6:7]
.LBB71_14:
	s_nop 0
	s_sendmsg sendmsg(MSG_DEALLOC_VGPRS)
	s_endpgm
	.section	.rodata,"a",@progbits
	.p2align	6, 0x0
	.amdhsa_kernel _Z24warp_reduce_valid_kernelIfLj63ELj7EENSt9enable_ifIXsr10test_utilsE35device_test_enabled_for_warp_size_vIXT1_EEEvE4typeEPT_S4_i
		.amdhsa_group_segment_fixed_size 252
		.amdhsa_private_segment_fixed_size 0
		.amdhsa_kernarg_size 280
		.amdhsa_user_sgpr_count 15
		.amdhsa_user_sgpr_dispatch_ptr 0
		.amdhsa_user_sgpr_queue_ptr 0
		.amdhsa_user_sgpr_kernarg_segment_ptr 1
		.amdhsa_user_sgpr_dispatch_id 0
		.amdhsa_user_sgpr_private_segment_size 0
		.amdhsa_wavefront_size32 1
		.amdhsa_uses_dynamic_stack 0
		.amdhsa_enable_private_segment 0
		.amdhsa_system_sgpr_workgroup_id_x 1
		.amdhsa_system_sgpr_workgroup_id_y 0
		.amdhsa_system_sgpr_workgroup_id_z 0
		.amdhsa_system_sgpr_workgroup_info 0
		.amdhsa_system_vgpr_workitem_id 0
		.amdhsa_next_free_vgpr 8
		.amdhsa_next_free_sgpr 16
		.amdhsa_reserve_vcc 1
		.amdhsa_float_round_mode_32 0
		.amdhsa_float_round_mode_16_64 0
		.amdhsa_float_denorm_mode_32 3
		.amdhsa_float_denorm_mode_16_64 3
		.amdhsa_dx10_clamp 1
		.amdhsa_ieee_mode 1
		.amdhsa_fp16_overflow 0
		.amdhsa_workgroup_processor_mode 1
		.amdhsa_memory_ordered 1
		.amdhsa_forward_progress 0
		.amdhsa_shared_vgpr_count 0
		.amdhsa_exception_fp_ieee_invalid_op 0
		.amdhsa_exception_fp_denorm_src 0
		.amdhsa_exception_fp_ieee_div_zero 0
		.amdhsa_exception_fp_ieee_overflow 0
		.amdhsa_exception_fp_ieee_underflow 0
		.amdhsa_exception_fp_ieee_inexact 0
		.amdhsa_exception_int_div_zero 0
	.end_amdhsa_kernel
	.section	.text._Z24warp_reduce_valid_kernelIfLj63ELj7EENSt9enable_ifIXsr10test_utilsE35device_test_enabled_for_warp_size_vIXT1_EEEvE4typeEPT_S4_i,"axG",@progbits,_Z24warp_reduce_valid_kernelIfLj63ELj7EENSt9enable_ifIXsr10test_utilsE35device_test_enabled_for_warp_size_vIXT1_EEEvE4typeEPT_S4_i,comdat
.Lfunc_end71:
	.size	_Z24warp_reduce_valid_kernelIfLj63ELj7EENSt9enable_ifIXsr10test_utilsE35device_test_enabled_for_warp_size_vIXT1_EEEvE4typeEPT_S4_i, .Lfunc_end71-_Z24warp_reduce_valid_kernelIfLj63ELj7EENSt9enable_ifIXsr10test_utilsE35device_test_enabled_for_warp_size_vIXT1_EEEvE4typeEPT_S4_i
                                        ; -- End function
	.section	.AMDGPU.csdata,"",@progbits
; Kernel info:
; codeLenInByte = 488
; NumSgprs: 18
; NumVgprs: 8
; ScratchSize: 0
; MemoryBound: 0
; FloatMode: 240
; IeeeMode: 1
; LDSByteSize: 252 bytes/workgroup (compile time only)
; SGPRBlocks: 2
; VGPRBlocks: 0
; NumSGPRsForWavesPerEU: 18
; NumVGPRsForWavesPerEU: 8
; Occupancy: 16
; WaveLimiterHint : 0
; COMPUTE_PGM_RSRC2:SCRATCH_EN: 0
; COMPUTE_PGM_RSRC2:USER_SGPR: 15
; COMPUTE_PGM_RSRC2:TRAP_HANDLER: 0
; COMPUTE_PGM_RSRC2:TGID_X_EN: 1
; COMPUTE_PGM_RSRC2:TGID_Y_EN: 0
; COMPUTE_PGM_RSRC2:TGID_Z_EN: 0
; COMPUTE_PGM_RSRC2:TIDIG_COMP_CNT: 0
	.section	.text._Z24warp_reduce_valid_kernelIfLj30ELj3EENSt9enable_ifIXsr10test_utilsE35device_test_enabled_for_warp_size_vIXT1_EEEvE4typeEPT_S4_i,"axG",@progbits,_Z24warp_reduce_valid_kernelIfLj30ELj3EENSt9enable_ifIXsr10test_utilsE35device_test_enabled_for_warp_size_vIXT1_EEEvE4typeEPT_S4_i,comdat
	.protected	_Z24warp_reduce_valid_kernelIfLj30ELj3EENSt9enable_ifIXsr10test_utilsE35device_test_enabled_for_warp_size_vIXT1_EEEvE4typeEPT_S4_i ; -- Begin function _Z24warp_reduce_valid_kernelIfLj30ELj3EENSt9enable_ifIXsr10test_utilsE35device_test_enabled_for_warp_size_vIXT1_EEEvE4typeEPT_S4_i
	.globl	_Z24warp_reduce_valid_kernelIfLj30ELj3EENSt9enable_ifIXsr10test_utilsE35device_test_enabled_for_warp_size_vIXT1_EEEvE4typeEPT_S4_i
	.p2align	8
	.type	_Z24warp_reduce_valid_kernelIfLj30ELj3EENSt9enable_ifIXsr10test_utilsE35device_test_enabled_for_warp_size_vIXT1_EEEvE4typeEPT_S4_i,@function
_Z24warp_reduce_valid_kernelIfLj30ELj3EENSt9enable_ifIXsr10test_utilsE35device_test_enabled_for_warp_size_vIXT1_EEEvE4typeEPT_S4_i: ; @_Z24warp_reduce_valid_kernelIfLj30ELj3EENSt9enable_ifIXsr10test_utilsE35device_test_enabled_for_warp_size_vIXT1_EEEvE4typeEPT_S4_i
; %bb.0:
	s_clause 0x2
	s_load_b32 s2, s[0:1], 0x24
	s_load_b128 s[4:7], s[0:1], 0x0
	s_load_b32 s1, s[0:1], 0x10
	v_mul_u32_u24_e32 v5, 0x5556, v0
	s_waitcnt lgkmcnt(0)
	s_and_b32 s2, s2, 0xffff
	s_delay_alu instid0(SALU_CYCLE_1) | instskip(SKIP_1) | instid1(VALU_DEP_1)
	v_mad_u64_u32 v[1:2], null, s15, s2, v[0:1]
	v_mov_b32_e32 v2, 0
	v_lshlrev_b64 v[2:3], 2, v[1:2]
	s_delay_alu instid0(VALU_DEP_1) | instskip(NEXT) | instid1(VALU_DEP_2)
	v_add_co_u32 v2, vcc_lo, s4, v2
	v_add_co_ci_u32_e32 v3, vcc_lo, s5, v3, vcc_lo
	global_load_b32 v2, v[2:3], off
	v_mbcnt_lo_u32_b32 v3, -1, 0
	s_delay_alu instid0(VALU_DEP_1) | instskip(NEXT) | instid1(VALU_DEP_1)
	v_mul_hi_u32 v4, 0x55555556, v3
	v_mul_u32_u24_e32 v4, 3, v4
	s_delay_alu instid0(VALU_DEP_1) | instskip(SKIP_1) | instid1(VALU_DEP_2)
	v_sub_nc_u32_e32 v6, v3, v4
	v_lshrrev_b32_e32 v3, 16, v5
	v_lshlrev_b32_e32 v5, 2, v6
	v_add_nc_u32_e32 v4, 2, v6
	v_cmp_eq_u32_e32 vcc_lo, 0, v6
	s_delay_alu instid0(VALU_DEP_2) | instskip(NEXT) | instid1(VALU_DEP_4)
	v_cmp_gt_u32_e64 s0, s1, v4
	v_mad_u32_u24 v4, v3, 12, v5
	v_mul_u32_u24_e32 v5, 12, v3
	s_delay_alu instid0(VALU_DEP_3)
	s_and_b32 s0, vcc_lo, s0
	s_waitcnt vmcnt(0)
	ds_store_b32 v4, v2
	; wave barrier
	s_and_saveexec_b32 s2, s0
	s_cbranch_execz .LBB72_2
; %bb.1:
	ds_load_b32 v2, v4
	ds_load_b32 v7, v5 offset:8
	s_waitcnt lgkmcnt(0)
	v_add_f32_e32 v2, v2, v7
.LBB72_2:
	s_or_b32 exec_lo, exec_lo, s2
	; wave barrier
	s_and_saveexec_b32 s2, s0
	s_cbranch_execz .LBB72_4
; %bb.3:
	ds_store_b32 v4, v2
.LBB72_4:
	s_or_b32 exec_lo, exec_lo, s2
	v_add_nc_u32_e32 v6, 1, v6
	; wave barrier
	s_delay_alu instid0(VALU_DEP_1) | instskip(NEXT) | instid1(VALU_DEP_1)
	v_cmp_gt_u32_e64 s0, s1, v6
	s_and_b32 s0, vcc_lo, s0
	s_delay_alu instid0(SALU_CYCLE_1)
	s_and_saveexec_b32 s1, s0
	s_cbranch_execz .LBB72_6
; %bb.5:
	ds_load_b32 v2, v4
	ds_load_b32 v5, v5 offset:4
	s_waitcnt lgkmcnt(0)
	v_add_f32_e32 v2, v2, v5
.LBB72_6:
	s_or_b32 exec_lo, exec_lo, s1
	; wave barrier
	s_and_saveexec_b32 s1, s0
	s_cbranch_execz .LBB72_8
; %bb.7:
	ds_store_b32 v4, v2
.LBB72_8:
	s_or_b32 exec_lo, exec_lo, s1
	v_mul_lo_u16 v3, v3, 3
	; wave barrier
	s_mov_b32 s0, exec_lo
	s_delay_alu instid0(VALU_DEP_1) | instskip(NEXT) | instid1(VALU_DEP_1)
	v_sub_nc_u16 v0, v0, v3
	v_cmpx_eq_u16_e32 0, v0
	s_cbranch_execz .LBB72_10
; %bb.9:
	v_mul_hi_u32 v0, 0xaaaaaaab, v1
	v_mov_b32_e32 v1, 0
	s_delay_alu instid0(VALU_DEP_2) | instskip(NEXT) | instid1(VALU_DEP_1)
	v_lshrrev_b32_e32 v0, 1, v0
	v_lshlrev_b64 v[0:1], 2, v[0:1]
	s_delay_alu instid0(VALU_DEP_1) | instskip(NEXT) | instid1(VALU_DEP_2)
	v_add_co_u32 v0, vcc_lo, s6, v0
	v_add_co_ci_u32_e32 v1, vcc_lo, s7, v1, vcc_lo
	global_store_b32 v[0:1], v2, off
.LBB72_10:
	s_nop 0
	s_sendmsg sendmsg(MSG_DEALLOC_VGPRS)
	s_endpgm
	.section	.rodata,"a",@progbits
	.p2align	6, 0x0
	.amdhsa_kernel _Z24warp_reduce_valid_kernelIfLj30ELj3EENSt9enable_ifIXsr10test_utilsE35device_test_enabled_for_warp_size_vIXT1_EEEvE4typeEPT_S4_i
		.amdhsa_group_segment_fixed_size 120
		.amdhsa_private_segment_fixed_size 0
		.amdhsa_kernarg_size 280
		.amdhsa_user_sgpr_count 15
		.amdhsa_user_sgpr_dispatch_ptr 0
		.amdhsa_user_sgpr_queue_ptr 0
		.amdhsa_user_sgpr_kernarg_segment_ptr 1
		.amdhsa_user_sgpr_dispatch_id 0
		.amdhsa_user_sgpr_private_segment_size 0
		.amdhsa_wavefront_size32 1
		.amdhsa_uses_dynamic_stack 0
		.amdhsa_enable_private_segment 0
		.amdhsa_system_sgpr_workgroup_id_x 1
		.amdhsa_system_sgpr_workgroup_id_y 0
		.amdhsa_system_sgpr_workgroup_id_z 0
		.amdhsa_system_sgpr_workgroup_info 0
		.amdhsa_system_vgpr_workitem_id 0
		.amdhsa_next_free_vgpr 8
		.amdhsa_next_free_sgpr 16
		.amdhsa_reserve_vcc 1
		.amdhsa_float_round_mode_32 0
		.amdhsa_float_round_mode_16_64 0
		.amdhsa_float_denorm_mode_32 3
		.amdhsa_float_denorm_mode_16_64 3
		.amdhsa_dx10_clamp 1
		.amdhsa_ieee_mode 1
		.amdhsa_fp16_overflow 0
		.amdhsa_workgroup_processor_mode 1
		.amdhsa_memory_ordered 1
		.amdhsa_forward_progress 0
		.amdhsa_shared_vgpr_count 0
		.amdhsa_exception_fp_ieee_invalid_op 0
		.amdhsa_exception_fp_denorm_src 0
		.amdhsa_exception_fp_ieee_div_zero 0
		.amdhsa_exception_fp_ieee_overflow 0
		.amdhsa_exception_fp_ieee_underflow 0
		.amdhsa_exception_fp_ieee_inexact 0
		.amdhsa_exception_int_div_zero 0
	.end_amdhsa_kernel
	.section	.text._Z24warp_reduce_valid_kernelIfLj30ELj3EENSt9enable_ifIXsr10test_utilsE35device_test_enabled_for_warp_size_vIXT1_EEEvE4typeEPT_S4_i,"axG",@progbits,_Z24warp_reduce_valid_kernelIfLj30ELj3EENSt9enable_ifIXsr10test_utilsE35device_test_enabled_for_warp_size_vIXT1_EEEvE4typeEPT_S4_i,comdat
.Lfunc_end72:
	.size	_Z24warp_reduce_valid_kernelIfLj30ELj3EENSt9enable_ifIXsr10test_utilsE35device_test_enabled_for_warp_size_vIXT1_EEEvE4typeEPT_S4_i, .Lfunc_end72-_Z24warp_reduce_valid_kernelIfLj30ELj3EENSt9enable_ifIXsr10test_utilsE35device_test_enabled_for_warp_size_vIXT1_EEEvE4typeEPT_S4_i
                                        ; -- End function
	.section	.AMDGPU.csdata,"",@progbits
; Kernel info:
; codeLenInByte = 428
; NumSgprs: 18
; NumVgprs: 8
; ScratchSize: 0
; MemoryBound: 0
; FloatMode: 240
; IeeeMode: 1
; LDSByteSize: 120 bytes/workgroup (compile time only)
; SGPRBlocks: 2
; VGPRBlocks: 0
; NumSGPRsForWavesPerEU: 18
; NumVGPRsForWavesPerEU: 8
; Occupancy: 16
; WaveLimiterHint : 0
; COMPUTE_PGM_RSRC2:SCRATCH_EN: 0
; COMPUTE_PGM_RSRC2:USER_SGPR: 15
; COMPUTE_PGM_RSRC2:TRAP_HANDLER: 0
; COMPUTE_PGM_RSRC2:TGID_X_EN: 1
; COMPUTE_PGM_RSRC2:TGID_Y_EN: 0
; COMPUTE_PGM_RSRC2:TGID_Z_EN: 0
; COMPUTE_PGM_RSRC2:TIDIG_COMP_CNT: 0
	.section	.text._Z24warp_reduce_valid_kernelIfLj63ELj3EENSt9enable_ifIXsr10test_utilsE35device_test_enabled_for_warp_size_vIXT1_EEEvE4typeEPT_S4_i,"axG",@progbits,_Z24warp_reduce_valid_kernelIfLj63ELj3EENSt9enable_ifIXsr10test_utilsE35device_test_enabled_for_warp_size_vIXT1_EEEvE4typeEPT_S4_i,comdat
	.protected	_Z24warp_reduce_valid_kernelIfLj63ELj3EENSt9enable_ifIXsr10test_utilsE35device_test_enabled_for_warp_size_vIXT1_EEEvE4typeEPT_S4_i ; -- Begin function _Z24warp_reduce_valid_kernelIfLj63ELj3EENSt9enable_ifIXsr10test_utilsE35device_test_enabled_for_warp_size_vIXT1_EEEvE4typeEPT_S4_i
	.globl	_Z24warp_reduce_valid_kernelIfLj63ELj3EENSt9enable_ifIXsr10test_utilsE35device_test_enabled_for_warp_size_vIXT1_EEEvE4typeEPT_S4_i
	.p2align	8
	.type	_Z24warp_reduce_valid_kernelIfLj63ELj3EENSt9enable_ifIXsr10test_utilsE35device_test_enabled_for_warp_size_vIXT1_EEEvE4typeEPT_S4_i,@function
_Z24warp_reduce_valid_kernelIfLj63ELj3EENSt9enable_ifIXsr10test_utilsE35device_test_enabled_for_warp_size_vIXT1_EEEvE4typeEPT_S4_i: ; @_Z24warp_reduce_valid_kernelIfLj63ELj3EENSt9enable_ifIXsr10test_utilsE35device_test_enabled_for_warp_size_vIXT1_EEEvE4typeEPT_S4_i
; %bb.0:
	s_clause 0x2
	s_load_b32 s2, s[0:1], 0x24
	s_load_b128 s[4:7], s[0:1], 0x0
	s_load_b32 s1, s[0:1], 0x10
	v_mul_u32_u24_e32 v5, 0x5556, v0
	s_waitcnt lgkmcnt(0)
	s_and_b32 s2, s2, 0xffff
	s_delay_alu instid0(SALU_CYCLE_1) | instskip(SKIP_1) | instid1(VALU_DEP_1)
	v_mad_u64_u32 v[1:2], null, s15, s2, v[0:1]
	v_mov_b32_e32 v2, 0
	v_lshlrev_b64 v[2:3], 2, v[1:2]
	s_delay_alu instid0(VALU_DEP_1) | instskip(NEXT) | instid1(VALU_DEP_2)
	v_add_co_u32 v2, vcc_lo, s4, v2
	v_add_co_ci_u32_e32 v3, vcc_lo, s5, v3, vcc_lo
	global_load_b32 v2, v[2:3], off
	v_mbcnt_lo_u32_b32 v3, -1, 0
	s_delay_alu instid0(VALU_DEP_1) | instskip(NEXT) | instid1(VALU_DEP_1)
	v_mul_hi_u32 v4, 0x55555556, v3
	v_mul_u32_u24_e32 v4, 3, v4
	s_delay_alu instid0(VALU_DEP_1) | instskip(SKIP_1) | instid1(VALU_DEP_2)
	v_sub_nc_u32_e32 v6, v3, v4
	v_lshrrev_b32_e32 v3, 16, v5
	v_lshlrev_b32_e32 v5, 2, v6
	v_add_nc_u32_e32 v4, 2, v6
	v_cmp_eq_u32_e32 vcc_lo, 0, v6
	s_delay_alu instid0(VALU_DEP_2) | instskip(NEXT) | instid1(VALU_DEP_4)
	v_cmp_gt_u32_e64 s0, s1, v4
	v_mad_u32_u24 v4, v3, 12, v5
	v_mul_u32_u24_e32 v5, 12, v3
	s_delay_alu instid0(VALU_DEP_3)
	s_and_b32 s0, vcc_lo, s0
	s_waitcnt vmcnt(0)
	ds_store_b32 v4, v2
	; wave barrier
	s_and_saveexec_b32 s2, s0
	s_cbranch_execz .LBB73_2
; %bb.1:
	ds_load_b32 v2, v4
	ds_load_b32 v7, v5 offset:8
	s_waitcnt lgkmcnt(0)
	v_add_f32_e32 v2, v2, v7
.LBB73_2:
	s_or_b32 exec_lo, exec_lo, s2
	; wave barrier
	s_and_saveexec_b32 s2, s0
	s_cbranch_execz .LBB73_4
; %bb.3:
	ds_store_b32 v4, v2
.LBB73_4:
	s_or_b32 exec_lo, exec_lo, s2
	v_add_nc_u32_e32 v6, 1, v6
	; wave barrier
	s_delay_alu instid0(VALU_DEP_1) | instskip(NEXT) | instid1(VALU_DEP_1)
	v_cmp_gt_u32_e64 s0, s1, v6
	s_and_b32 s0, vcc_lo, s0
	s_delay_alu instid0(SALU_CYCLE_1)
	s_and_saveexec_b32 s1, s0
	s_cbranch_execz .LBB73_6
; %bb.5:
	ds_load_b32 v2, v4
	ds_load_b32 v5, v5 offset:4
	s_waitcnt lgkmcnt(0)
	v_add_f32_e32 v2, v2, v5
.LBB73_6:
	s_or_b32 exec_lo, exec_lo, s1
	; wave barrier
	s_and_saveexec_b32 s1, s0
	s_cbranch_execz .LBB73_8
; %bb.7:
	ds_store_b32 v4, v2
.LBB73_8:
	s_or_b32 exec_lo, exec_lo, s1
	v_mul_lo_u16 v3, v3, 3
	; wave barrier
	s_mov_b32 s0, exec_lo
	s_delay_alu instid0(VALU_DEP_1) | instskip(NEXT) | instid1(VALU_DEP_1)
	v_sub_nc_u16 v0, v0, v3
	v_cmpx_eq_u16_e32 0, v0
	s_cbranch_execz .LBB73_10
; %bb.9:
	v_mul_hi_u32 v0, 0xaaaaaaab, v1
	v_mov_b32_e32 v1, 0
	s_delay_alu instid0(VALU_DEP_2) | instskip(NEXT) | instid1(VALU_DEP_1)
	v_lshrrev_b32_e32 v0, 1, v0
	v_lshlrev_b64 v[0:1], 2, v[0:1]
	s_delay_alu instid0(VALU_DEP_1) | instskip(NEXT) | instid1(VALU_DEP_2)
	v_add_co_u32 v0, vcc_lo, s6, v0
	v_add_co_ci_u32_e32 v1, vcc_lo, s7, v1, vcc_lo
	global_store_b32 v[0:1], v2, off
.LBB73_10:
	s_nop 0
	s_sendmsg sendmsg(MSG_DEALLOC_VGPRS)
	s_endpgm
	.section	.rodata,"a",@progbits
	.p2align	6, 0x0
	.amdhsa_kernel _Z24warp_reduce_valid_kernelIfLj63ELj3EENSt9enable_ifIXsr10test_utilsE35device_test_enabled_for_warp_size_vIXT1_EEEvE4typeEPT_S4_i
		.amdhsa_group_segment_fixed_size 252
		.amdhsa_private_segment_fixed_size 0
		.amdhsa_kernarg_size 280
		.amdhsa_user_sgpr_count 15
		.amdhsa_user_sgpr_dispatch_ptr 0
		.amdhsa_user_sgpr_queue_ptr 0
		.amdhsa_user_sgpr_kernarg_segment_ptr 1
		.amdhsa_user_sgpr_dispatch_id 0
		.amdhsa_user_sgpr_private_segment_size 0
		.amdhsa_wavefront_size32 1
		.amdhsa_uses_dynamic_stack 0
		.amdhsa_enable_private_segment 0
		.amdhsa_system_sgpr_workgroup_id_x 1
		.amdhsa_system_sgpr_workgroup_id_y 0
		.amdhsa_system_sgpr_workgroup_id_z 0
		.amdhsa_system_sgpr_workgroup_info 0
		.amdhsa_system_vgpr_workitem_id 0
		.amdhsa_next_free_vgpr 8
		.amdhsa_next_free_sgpr 16
		.amdhsa_reserve_vcc 1
		.amdhsa_float_round_mode_32 0
		.amdhsa_float_round_mode_16_64 0
		.amdhsa_float_denorm_mode_32 3
		.amdhsa_float_denorm_mode_16_64 3
		.amdhsa_dx10_clamp 1
		.amdhsa_ieee_mode 1
		.amdhsa_fp16_overflow 0
		.amdhsa_workgroup_processor_mode 1
		.amdhsa_memory_ordered 1
		.amdhsa_forward_progress 0
		.amdhsa_shared_vgpr_count 0
		.amdhsa_exception_fp_ieee_invalid_op 0
		.amdhsa_exception_fp_denorm_src 0
		.amdhsa_exception_fp_ieee_div_zero 0
		.amdhsa_exception_fp_ieee_overflow 0
		.amdhsa_exception_fp_ieee_underflow 0
		.amdhsa_exception_fp_ieee_inexact 0
		.amdhsa_exception_int_div_zero 0
	.end_amdhsa_kernel
	.section	.text._Z24warp_reduce_valid_kernelIfLj63ELj3EENSt9enable_ifIXsr10test_utilsE35device_test_enabled_for_warp_size_vIXT1_EEEvE4typeEPT_S4_i,"axG",@progbits,_Z24warp_reduce_valid_kernelIfLj63ELj3EENSt9enable_ifIXsr10test_utilsE35device_test_enabled_for_warp_size_vIXT1_EEEvE4typeEPT_S4_i,comdat
.Lfunc_end73:
	.size	_Z24warp_reduce_valid_kernelIfLj63ELj3EENSt9enable_ifIXsr10test_utilsE35device_test_enabled_for_warp_size_vIXT1_EEEvE4typeEPT_S4_i, .Lfunc_end73-_Z24warp_reduce_valid_kernelIfLj63ELj3EENSt9enable_ifIXsr10test_utilsE35device_test_enabled_for_warp_size_vIXT1_EEEvE4typeEPT_S4_i
                                        ; -- End function
	.section	.AMDGPU.csdata,"",@progbits
; Kernel info:
; codeLenInByte = 428
; NumSgprs: 18
; NumVgprs: 8
; ScratchSize: 0
; MemoryBound: 0
; FloatMode: 240
; IeeeMode: 1
; LDSByteSize: 252 bytes/workgroup (compile time only)
; SGPRBlocks: 2
; VGPRBlocks: 0
; NumSGPRsForWavesPerEU: 18
; NumVGPRsForWavesPerEU: 8
; Occupancy: 16
; WaveLimiterHint : 0
; COMPUTE_PGM_RSRC2:SCRATCH_EN: 0
; COMPUTE_PGM_RSRC2:USER_SGPR: 15
; COMPUTE_PGM_RSRC2:TRAP_HANDLER: 0
; COMPUTE_PGM_RSRC2:TGID_X_EN: 1
; COMPUTE_PGM_RSRC2:TGID_Y_EN: 0
; COMPUTE_PGM_RSRC2:TGID_Z_EN: 0
; COMPUTE_PGM_RSRC2:TIDIG_COMP_CNT: 0
	.section	.text._Z24warp_reduce_valid_kernelIiLj1ELj61EENSt9enable_ifIXntsr10test_utilsE35device_test_enabled_for_warp_size_vIXT1_EEEvE4typeEPT_S4_i,"axG",@progbits,_Z24warp_reduce_valid_kernelIiLj1ELj61EENSt9enable_ifIXntsr10test_utilsE35device_test_enabled_for_warp_size_vIXT1_EEEvE4typeEPT_S4_i,comdat
	.protected	_Z24warp_reduce_valid_kernelIiLj1ELj61EENSt9enable_ifIXntsr10test_utilsE35device_test_enabled_for_warp_size_vIXT1_EEEvE4typeEPT_S4_i ; -- Begin function _Z24warp_reduce_valid_kernelIiLj1ELj61EENSt9enable_ifIXntsr10test_utilsE35device_test_enabled_for_warp_size_vIXT1_EEEvE4typeEPT_S4_i
	.globl	_Z24warp_reduce_valid_kernelIiLj1ELj61EENSt9enable_ifIXntsr10test_utilsE35device_test_enabled_for_warp_size_vIXT1_EEEvE4typeEPT_S4_i
	.p2align	8
	.type	_Z24warp_reduce_valid_kernelIiLj1ELj61EENSt9enable_ifIXntsr10test_utilsE35device_test_enabled_for_warp_size_vIXT1_EEEvE4typeEPT_S4_i,@function
_Z24warp_reduce_valid_kernelIiLj1ELj61EENSt9enable_ifIXntsr10test_utilsE35device_test_enabled_for_warp_size_vIXT1_EEEvE4typeEPT_S4_i: ; @_Z24warp_reduce_valid_kernelIiLj1ELj61EENSt9enable_ifIXntsr10test_utilsE35device_test_enabled_for_warp_size_vIXT1_EEEvE4typeEPT_S4_i
; %bb.0:
	s_endpgm
	.section	.rodata,"a",@progbits
	.p2align	6, 0x0
	.amdhsa_kernel _Z24warp_reduce_valid_kernelIiLj1ELj61EENSt9enable_ifIXntsr10test_utilsE35device_test_enabled_for_warp_size_vIXT1_EEEvE4typeEPT_S4_i
		.amdhsa_group_segment_fixed_size 0
		.amdhsa_private_segment_fixed_size 0
		.amdhsa_kernarg_size 20
		.amdhsa_user_sgpr_count 15
		.amdhsa_user_sgpr_dispatch_ptr 0
		.amdhsa_user_sgpr_queue_ptr 0
		.amdhsa_user_sgpr_kernarg_segment_ptr 1
		.amdhsa_user_sgpr_dispatch_id 0
		.amdhsa_user_sgpr_private_segment_size 0
		.amdhsa_wavefront_size32 1
		.amdhsa_uses_dynamic_stack 0
		.amdhsa_enable_private_segment 0
		.amdhsa_system_sgpr_workgroup_id_x 1
		.amdhsa_system_sgpr_workgroup_id_y 0
		.amdhsa_system_sgpr_workgroup_id_z 0
		.amdhsa_system_sgpr_workgroup_info 0
		.amdhsa_system_vgpr_workitem_id 0
		.amdhsa_next_free_vgpr 1
		.amdhsa_next_free_sgpr 1
		.amdhsa_reserve_vcc 0
		.amdhsa_float_round_mode_32 0
		.amdhsa_float_round_mode_16_64 0
		.amdhsa_float_denorm_mode_32 3
		.amdhsa_float_denorm_mode_16_64 3
		.amdhsa_dx10_clamp 1
		.amdhsa_ieee_mode 1
		.amdhsa_fp16_overflow 0
		.amdhsa_workgroup_processor_mode 1
		.amdhsa_memory_ordered 1
		.amdhsa_forward_progress 0
		.amdhsa_shared_vgpr_count 0
		.amdhsa_exception_fp_ieee_invalid_op 0
		.amdhsa_exception_fp_denorm_src 0
		.amdhsa_exception_fp_ieee_div_zero 0
		.amdhsa_exception_fp_ieee_overflow 0
		.amdhsa_exception_fp_ieee_underflow 0
		.amdhsa_exception_fp_ieee_inexact 0
		.amdhsa_exception_int_div_zero 0
	.end_amdhsa_kernel
	.section	.text._Z24warp_reduce_valid_kernelIiLj1ELj61EENSt9enable_ifIXntsr10test_utilsE35device_test_enabled_for_warp_size_vIXT1_EEEvE4typeEPT_S4_i,"axG",@progbits,_Z24warp_reduce_valid_kernelIiLj1ELj61EENSt9enable_ifIXntsr10test_utilsE35device_test_enabled_for_warp_size_vIXT1_EEEvE4typeEPT_S4_i,comdat
.Lfunc_end74:
	.size	_Z24warp_reduce_valid_kernelIiLj1ELj61EENSt9enable_ifIXntsr10test_utilsE35device_test_enabled_for_warp_size_vIXT1_EEEvE4typeEPT_S4_i, .Lfunc_end74-_Z24warp_reduce_valid_kernelIiLj1ELj61EENSt9enable_ifIXntsr10test_utilsE35device_test_enabled_for_warp_size_vIXT1_EEEvE4typeEPT_S4_i
                                        ; -- End function
	.section	.AMDGPU.csdata,"",@progbits
; Kernel info:
; codeLenInByte = 4
; NumSgprs: 0
; NumVgprs: 0
; ScratchSize: 0
; MemoryBound: 0
; FloatMode: 240
; IeeeMode: 1
; LDSByteSize: 0 bytes/workgroup (compile time only)
; SGPRBlocks: 0
; VGPRBlocks: 0
; NumSGPRsForWavesPerEU: 1
; NumVGPRsForWavesPerEU: 1
; Occupancy: 16
; WaveLimiterHint : 0
; COMPUTE_PGM_RSRC2:SCRATCH_EN: 0
; COMPUTE_PGM_RSRC2:USER_SGPR: 15
; COMPUTE_PGM_RSRC2:TRAP_HANDLER: 0
; COMPUTE_PGM_RSRC2:TGID_X_EN: 1
; COMPUTE_PGM_RSRC2:TGID_Y_EN: 0
; COMPUTE_PGM_RSRC2:TGID_Z_EN: 0
; COMPUTE_PGM_RSRC2:TIDIG_COMP_CNT: 0
	.section	.text._Z24warp_reduce_valid_kernelIiLj61ELj61EENSt9enable_ifIXntsr10test_utilsE35device_test_enabled_for_warp_size_vIXT1_EEEvE4typeEPT_S4_i,"axG",@progbits,_Z24warp_reduce_valid_kernelIiLj61ELj61EENSt9enable_ifIXntsr10test_utilsE35device_test_enabled_for_warp_size_vIXT1_EEEvE4typeEPT_S4_i,comdat
	.protected	_Z24warp_reduce_valid_kernelIiLj61ELj61EENSt9enable_ifIXntsr10test_utilsE35device_test_enabled_for_warp_size_vIXT1_EEEvE4typeEPT_S4_i ; -- Begin function _Z24warp_reduce_valid_kernelIiLj61ELj61EENSt9enable_ifIXntsr10test_utilsE35device_test_enabled_for_warp_size_vIXT1_EEEvE4typeEPT_S4_i
	.globl	_Z24warp_reduce_valid_kernelIiLj61ELj61EENSt9enable_ifIXntsr10test_utilsE35device_test_enabled_for_warp_size_vIXT1_EEEvE4typeEPT_S4_i
	.p2align	8
	.type	_Z24warp_reduce_valid_kernelIiLj61ELj61EENSt9enable_ifIXntsr10test_utilsE35device_test_enabled_for_warp_size_vIXT1_EEEvE4typeEPT_S4_i,@function
_Z24warp_reduce_valid_kernelIiLj61ELj61EENSt9enable_ifIXntsr10test_utilsE35device_test_enabled_for_warp_size_vIXT1_EEEvE4typeEPT_S4_i: ; @_Z24warp_reduce_valid_kernelIiLj61ELj61EENSt9enable_ifIXntsr10test_utilsE35device_test_enabled_for_warp_size_vIXT1_EEEvE4typeEPT_S4_i
; %bb.0:
	s_endpgm
	.section	.rodata,"a",@progbits
	.p2align	6, 0x0
	.amdhsa_kernel _Z24warp_reduce_valid_kernelIiLj61ELj61EENSt9enable_ifIXntsr10test_utilsE35device_test_enabled_for_warp_size_vIXT1_EEEvE4typeEPT_S4_i
		.amdhsa_group_segment_fixed_size 0
		.amdhsa_private_segment_fixed_size 0
		.amdhsa_kernarg_size 20
		.amdhsa_user_sgpr_count 15
		.amdhsa_user_sgpr_dispatch_ptr 0
		.amdhsa_user_sgpr_queue_ptr 0
		.amdhsa_user_sgpr_kernarg_segment_ptr 1
		.amdhsa_user_sgpr_dispatch_id 0
		.amdhsa_user_sgpr_private_segment_size 0
		.amdhsa_wavefront_size32 1
		.amdhsa_uses_dynamic_stack 0
		.amdhsa_enable_private_segment 0
		.amdhsa_system_sgpr_workgroup_id_x 1
		.amdhsa_system_sgpr_workgroup_id_y 0
		.amdhsa_system_sgpr_workgroup_id_z 0
		.amdhsa_system_sgpr_workgroup_info 0
		.amdhsa_system_vgpr_workitem_id 0
		.amdhsa_next_free_vgpr 1
		.amdhsa_next_free_sgpr 1
		.amdhsa_reserve_vcc 0
		.amdhsa_float_round_mode_32 0
		.amdhsa_float_round_mode_16_64 0
		.amdhsa_float_denorm_mode_32 3
		.amdhsa_float_denorm_mode_16_64 3
		.amdhsa_dx10_clamp 1
		.amdhsa_ieee_mode 1
		.amdhsa_fp16_overflow 0
		.amdhsa_workgroup_processor_mode 1
		.amdhsa_memory_ordered 1
		.amdhsa_forward_progress 0
		.amdhsa_shared_vgpr_count 0
		.amdhsa_exception_fp_ieee_invalid_op 0
		.amdhsa_exception_fp_denorm_src 0
		.amdhsa_exception_fp_ieee_div_zero 0
		.amdhsa_exception_fp_ieee_overflow 0
		.amdhsa_exception_fp_ieee_underflow 0
		.amdhsa_exception_fp_ieee_inexact 0
		.amdhsa_exception_int_div_zero 0
	.end_amdhsa_kernel
	.section	.text._Z24warp_reduce_valid_kernelIiLj61ELj61EENSt9enable_ifIXntsr10test_utilsE35device_test_enabled_for_warp_size_vIXT1_EEEvE4typeEPT_S4_i,"axG",@progbits,_Z24warp_reduce_valid_kernelIiLj61ELj61EENSt9enable_ifIXntsr10test_utilsE35device_test_enabled_for_warp_size_vIXT1_EEEvE4typeEPT_S4_i,comdat
.Lfunc_end75:
	.size	_Z24warp_reduce_valid_kernelIiLj61ELj61EENSt9enable_ifIXntsr10test_utilsE35device_test_enabled_for_warp_size_vIXT1_EEEvE4typeEPT_S4_i, .Lfunc_end75-_Z24warp_reduce_valid_kernelIiLj61ELj61EENSt9enable_ifIXntsr10test_utilsE35device_test_enabled_for_warp_size_vIXT1_EEEvE4typeEPT_S4_i
                                        ; -- End function
	.section	.AMDGPU.csdata,"",@progbits
; Kernel info:
; codeLenInByte = 4
; NumSgprs: 0
; NumVgprs: 0
; ScratchSize: 0
; MemoryBound: 0
; FloatMode: 240
; IeeeMode: 1
; LDSByteSize: 0 bytes/workgroup (compile time only)
; SGPRBlocks: 0
; VGPRBlocks: 0
; NumSGPRsForWavesPerEU: 1
; NumVGPRsForWavesPerEU: 1
; Occupancy: 16
; WaveLimiterHint : 0
; COMPUTE_PGM_RSRC2:SCRATCH_EN: 0
; COMPUTE_PGM_RSRC2:USER_SGPR: 15
; COMPUTE_PGM_RSRC2:TRAP_HANDLER: 0
; COMPUTE_PGM_RSRC2:TGID_X_EN: 1
; COMPUTE_PGM_RSRC2:TGID_Y_EN: 0
; COMPUTE_PGM_RSRC2:TGID_Z_EN: 0
; COMPUTE_PGM_RSRC2:TIDIG_COMP_CNT: 0
	.section	.text._Z24warp_reduce_valid_kernelIiLj1ELj37EENSt9enable_ifIXntsr10test_utilsE35device_test_enabled_for_warp_size_vIXT1_EEEvE4typeEPT_S4_i,"axG",@progbits,_Z24warp_reduce_valid_kernelIiLj1ELj37EENSt9enable_ifIXntsr10test_utilsE35device_test_enabled_for_warp_size_vIXT1_EEEvE4typeEPT_S4_i,comdat
	.protected	_Z24warp_reduce_valid_kernelIiLj1ELj37EENSt9enable_ifIXntsr10test_utilsE35device_test_enabled_for_warp_size_vIXT1_EEEvE4typeEPT_S4_i ; -- Begin function _Z24warp_reduce_valid_kernelIiLj1ELj37EENSt9enable_ifIXntsr10test_utilsE35device_test_enabled_for_warp_size_vIXT1_EEEvE4typeEPT_S4_i
	.globl	_Z24warp_reduce_valid_kernelIiLj1ELj37EENSt9enable_ifIXntsr10test_utilsE35device_test_enabled_for_warp_size_vIXT1_EEEvE4typeEPT_S4_i
	.p2align	8
	.type	_Z24warp_reduce_valid_kernelIiLj1ELj37EENSt9enable_ifIXntsr10test_utilsE35device_test_enabled_for_warp_size_vIXT1_EEEvE4typeEPT_S4_i,@function
_Z24warp_reduce_valid_kernelIiLj1ELj37EENSt9enable_ifIXntsr10test_utilsE35device_test_enabled_for_warp_size_vIXT1_EEEvE4typeEPT_S4_i: ; @_Z24warp_reduce_valid_kernelIiLj1ELj37EENSt9enable_ifIXntsr10test_utilsE35device_test_enabled_for_warp_size_vIXT1_EEEvE4typeEPT_S4_i
; %bb.0:
	s_endpgm
	.section	.rodata,"a",@progbits
	.p2align	6, 0x0
	.amdhsa_kernel _Z24warp_reduce_valid_kernelIiLj1ELj37EENSt9enable_ifIXntsr10test_utilsE35device_test_enabled_for_warp_size_vIXT1_EEEvE4typeEPT_S4_i
		.amdhsa_group_segment_fixed_size 0
		.amdhsa_private_segment_fixed_size 0
		.amdhsa_kernarg_size 20
		.amdhsa_user_sgpr_count 15
		.amdhsa_user_sgpr_dispatch_ptr 0
		.amdhsa_user_sgpr_queue_ptr 0
		.amdhsa_user_sgpr_kernarg_segment_ptr 1
		.amdhsa_user_sgpr_dispatch_id 0
		.amdhsa_user_sgpr_private_segment_size 0
		.amdhsa_wavefront_size32 1
		.amdhsa_uses_dynamic_stack 0
		.amdhsa_enable_private_segment 0
		.amdhsa_system_sgpr_workgroup_id_x 1
		.amdhsa_system_sgpr_workgroup_id_y 0
		.amdhsa_system_sgpr_workgroup_id_z 0
		.amdhsa_system_sgpr_workgroup_info 0
		.amdhsa_system_vgpr_workitem_id 0
		.amdhsa_next_free_vgpr 1
		.amdhsa_next_free_sgpr 1
		.amdhsa_reserve_vcc 0
		.amdhsa_float_round_mode_32 0
		.amdhsa_float_round_mode_16_64 0
		.amdhsa_float_denorm_mode_32 3
		.amdhsa_float_denorm_mode_16_64 3
		.amdhsa_dx10_clamp 1
		.amdhsa_ieee_mode 1
		.amdhsa_fp16_overflow 0
		.amdhsa_workgroup_processor_mode 1
		.amdhsa_memory_ordered 1
		.amdhsa_forward_progress 0
		.amdhsa_shared_vgpr_count 0
		.amdhsa_exception_fp_ieee_invalid_op 0
		.amdhsa_exception_fp_denorm_src 0
		.amdhsa_exception_fp_ieee_div_zero 0
		.amdhsa_exception_fp_ieee_overflow 0
		.amdhsa_exception_fp_ieee_underflow 0
		.amdhsa_exception_fp_ieee_inexact 0
		.amdhsa_exception_int_div_zero 0
	.end_amdhsa_kernel
	.section	.text._Z24warp_reduce_valid_kernelIiLj1ELj37EENSt9enable_ifIXntsr10test_utilsE35device_test_enabled_for_warp_size_vIXT1_EEEvE4typeEPT_S4_i,"axG",@progbits,_Z24warp_reduce_valid_kernelIiLj1ELj37EENSt9enable_ifIXntsr10test_utilsE35device_test_enabled_for_warp_size_vIXT1_EEEvE4typeEPT_S4_i,comdat
.Lfunc_end76:
	.size	_Z24warp_reduce_valid_kernelIiLj1ELj37EENSt9enable_ifIXntsr10test_utilsE35device_test_enabled_for_warp_size_vIXT1_EEEvE4typeEPT_S4_i, .Lfunc_end76-_Z24warp_reduce_valid_kernelIiLj1ELj37EENSt9enable_ifIXntsr10test_utilsE35device_test_enabled_for_warp_size_vIXT1_EEEvE4typeEPT_S4_i
                                        ; -- End function
	.section	.AMDGPU.csdata,"",@progbits
; Kernel info:
; codeLenInByte = 4
; NumSgprs: 0
; NumVgprs: 0
; ScratchSize: 0
; MemoryBound: 0
; FloatMode: 240
; IeeeMode: 1
; LDSByteSize: 0 bytes/workgroup (compile time only)
; SGPRBlocks: 0
; VGPRBlocks: 0
; NumSGPRsForWavesPerEU: 1
; NumVGPRsForWavesPerEU: 1
; Occupancy: 16
; WaveLimiterHint : 0
; COMPUTE_PGM_RSRC2:SCRATCH_EN: 0
; COMPUTE_PGM_RSRC2:USER_SGPR: 15
; COMPUTE_PGM_RSRC2:TRAP_HANDLER: 0
; COMPUTE_PGM_RSRC2:TGID_X_EN: 1
; COMPUTE_PGM_RSRC2:TGID_Y_EN: 0
; COMPUTE_PGM_RSRC2:TGID_Z_EN: 0
; COMPUTE_PGM_RSRC2:TIDIG_COMP_CNT: 0
	.section	.text._Z24warp_reduce_valid_kernelIiLj37ELj37EENSt9enable_ifIXntsr10test_utilsE35device_test_enabled_for_warp_size_vIXT1_EEEvE4typeEPT_S4_i,"axG",@progbits,_Z24warp_reduce_valid_kernelIiLj37ELj37EENSt9enable_ifIXntsr10test_utilsE35device_test_enabled_for_warp_size_vIXT1_EEEvE4typeEPT_S4_i,comdat
	.protected	_Z24warp_reduce_valid_kernelIiLj37ELj37EENSt9enable_ifIXntsr10test_utilsE35device_test_enabled_for_warp_size_vIXT1_EEEvE4typeEPT_S4_i ; -- Begin function _Z24warp_reduce_valid_kernelIiLj37ELj37EENSt9enable_ifIXntsr10test_utilsE35device_test_enabled_for_warp_size_vIXT1_EEEvE4typeEPT_S4_i
	.globl	_Z24warp_reduce_valid_kernelIiLj37ELj37EENSt9enable_ifIXntsr10test_utilsE35device_test_enabled_for_warp_size_vIXT1_EEEvE4typeEPT_S4_i
	.p2align	8
	.type	_Z24warp_reduce_valid_kernelIiLj37ELj37EENSt9enable_ifIXntsr10test_utilsE35device_test_enabled_for_warp_size_vIXT1_EEEvE4typeEPT_S4_i,@function
_Z24warp_reduce_valid_kernelIiLj37ELj37EENSt9enable_ifIXntsr10test_utilsE35device_test_enabled_for_warp_size_vIXT1_EEEvE4typeEPT_S4_i: ; @_Z24warp_reduce_valid_kernelIiLj37ELj37EENSt9enable_ifIXntsr10test_utilsE35device_test_enabled_for_warp_size_vIXT1_EEEvE4typeEPT_S4_i
; %bb.0:
	s_endpgm
	.section	.rodata,"a",@progbits
	.p2align	6, 0x0
	.amdhsa_kernel _Z24warp_reduce_valid_kernelIiLj37ELj37EENSt9enable_ifIXntsr10test_utilsE35device_test_enabled_for_warp_size_vIXT1_EEEvE4typeEPT_S4_i
		.amdhsa_group_segment_fixed_size 0
		.amdhsa_private_segment_fixed_size 0
		.amdhsa_kernarg_size 20
		.amdhsa_user_sgpr_count 15
		.amdhsa_user_sgpr_dispatch_ptr 0
		.amdhsa_user_sgpr_queue_ptr 0
		.amdhsa_user_sgpr_kernarg_segment_ptr 1
		.amdhsa_user_sgpr_dispatch_id 0
		.amdhsa_user_sgpr_private_segment_size 0
		.amdhsa_wavefront_size32 1
		.amdhsa_uses_dynamic_stack 0
		.amdhsa_enable_private_segment 0
		.amdhsa_system_sgpr_workgroup_id_x 1
		.amdhsa_system_sgpr_workgroup_id_y 0
		.amdhsa_system_sgpr_workgroup_id_z 0
		.amdhsa_system_sgpr_workgroup_info 0
		.amdhsa_system_vgpr_workitem_id 0
		.amdhsa_next_free_vgpr 1
		.amdhsa_next_free_sgpr 1
		.amdhsa_reserve_vcc 0
		.amdhsa_float_round_mode_32 0
		.amdhsa_float_round_mode_16_64 0
		.amdhsa_float_denorm_mode_32 3
		.amdhsa_float_denorm_mode_16_64 3
		.amdhsa_dx10_clamp 1
		.amdhsa_ieee_mode 1
		.amdhsa_fp16_overflow 0
		.amdhsa_workgroup_processor_mode 1
		.amdhsa_memory_ordered 1
		.amdhsa_forward_progress 0
		.amdhsa_shared_vgpr_count 0
		.amdhsa_exception_fp_ieee_invalid_op 0
		.amdhsa_exception_fp_denorm_src 0
		.amdhsa_exception_fp_ieee_div_zero 0
		.amdhsa_exception_fp_ieee_overflow 0
		.amdhsa_exception_fp_ieee_underflow 0
		.amdhsa_exception_fp_ieee_inexact 0
		.amdhsa_exception_int_div_zero 0
	.end_amdhsa_kernel
	.section	.text._Z24warp_reduce_valid_kernelIiLj37ELj37EENSt9enable_ifIXntsr10test_utilsE35device_test_enabled_for_warp_size_vIXT1_EEEvE4typeEPT_S4_i,"axG",@progbits,_Z24warp_reduce_valid_kernelIiLj37ELj37EENSt9enable_ifIXntsr10test_utilsE35device_test_enabled_for_warp_size_vIXT1_EEEvE4typeEPT_S4_i,comdat
.Lfunc_end77:
	.size	_Z24warp_reduce_valid_kernelIiLj37ELj37EENSt9enable_ifIXntsr10test_utilsE35device_test_enabled_for_warp_size_vIXT1_EEEvE4typeEPT_S4_i, .Lfunc_end77-_Z24warp_reduce_valid_kernelIiLj37ELj37EENSt9enable_ifIXntsr10test_utilsE35device_test_enabled_for_warp_size_vIXT1_EEEvE4typeEPT_S4_i
                                        ; -- End function
	.section	.AMDGPU.csdata,"",@progbits
; Kernel info:
; codeLenInByte = 4
; NumSgprs: 0
; NumVgprs: 0
; ScratchSize: 0
; MemoryBound: 0
; FloatMode: 240
; IeeeMode: 1
; LDSByteSize: 0 bytes/workgroup (compile time only)
; SGPRBlocks: 0
; VGPRBlocks: 0
; NumSGPRsForWavesPerEU: 1
; NumVGPRsForWavesPerEU: 1
; Occupancy: 16
; WaveLimiterHint : 0
; COMPUTE_PGM_RSRC2:SCRATCH_EN: 0
; COMPUTE_PGM_RSRC2:USER_SGPR: 15
; COMPUTE_PGM_RSRC2:TRAP_HANDLER: 0
; COMPUTE_PGM_RSRC2:TGID_X_EN: 1
; COMPUTE_PGM_RSRC2:TGID_Y_EN: 0
; COMPUTE_PGM_RSRC2:TGID_Z_EN: 0
; COMPUTE_PGM_RSRC2:TIDIG_COMP_CNT: 0
	.section	.text._Z24warp_reduce_valid_kernelIiLj30ELj15EENSt9enable_ifIXsr10test_utilsE35device_test_enabled_for_warp_size_vIXT1_EEEvE4typeEPT_S4_i,"axG",@progbits,_Z24warp_reduce_valid_kernelIiLj30ELj15EENSt9enable_ifIXsr10test_utilsE35device_test_enabled_for_warp_size_vIXT1_EEEvE4typeEPT_S4_i,comdat
	.protected	_Z24warp_reduce_valid_kernelIiLj30ELj15EENSt9enable_ifIXsr10test_utilsE35device_test_enabled_for_warp_size_vIXT1_EEEvE4typeEPT_S4_i ; -- Begin function _Z24warp_reduce_valid_kernelIiLj30ELj15EENSt9enable_ifIXsr10test_utilsE35device_test_enabled_for_warp_size_vIXT1_EEEvE4typeEPT_S4_i
	.globl	_Z24warp_reduce_valid_kernelIiLj30ELj15EENSt9enable_ifIXsr10test_utilsE35device_test_enabled_for_warp_size_vIXT1_EEEvE4typeEPT_S4_i
	.p2align	8
	.type	_Z24warp_reduce_valid_kernelIiLj30ELj15EENSt9enable_ifIXsr10test_utilsE35device_test_enabled_for_warp_size_vIXT1_EEEvE4typeEPT_S4_i,@function
_Z24warp_reduce_valid_kernelIiLj30ELj15EENSt9enable_ifIXsr10test_utilsE35device_test_enabled_for_warp_size_vIXT1_EEEvE4typeEPT_S4_i: ; @_Z24warp_reduce_valid_kernelIiLj30ELj15EENSt9enable_ifIXsr10test_utilsE35device_test_enabled_for_warp_size_vIXT1_EEEvE4typeEPT_S4_i
; %bb.0:
	s_clause 0x2
	s_load_b32 s2, s[0:1], 0x24
	s_load_b128 s[4:7], s[0:1], 0x0
	s_load_b32 s1, s[0:1], 0x10
	v_mul_u32_u24_e32 v6, 0x1112, v0
	s_waitcnt lgkmcnt(0)
	s_and_b32 s2, s2, 0xffff
	s_delay_alu instid0(SALU_CYCLE_1) | instskip(SKIP_1) | instid1(VALU_DEP_1)
	v_mad_u64_u32 v[1:2], null, s15, s2, v[0:1]
	v_mov_b32_e32 v2, 0
	v_lshlrev_b64 v[2:3], 2, v[1:2]
	s_delay_alu instid0(VALU_DEP_1) | instskip(NEXT) | instid1(VALU_DEP_2)
	v_add_co_u32 v2, vcc_lo, s4, v2
	v_add_co_ci_u32_e32 v3, vcc_lo, s5, v3, vcc_lo
	global_load_b32 v2, v[2:3], off
	v_mbcnt_lo_u32_b32 v3, -1, 0
	s_delay_alu instid0(VALU_DEP_1) | instskip(NEXT) | instid1(VALU_DEP_1)
	v_mul_hi_u32 v4, 0x11111112, v3
	v_mul_u32_u24_e32 v4, 15, v4
	s_delay_alu instid0(VALU_DEP_1) | instskip(SKIP_1) | instid1(VALU_DEP_2)
	v_sub_nc_u32_e32 v5, v3, v4
	v_lshrrev_b32_e32 v3, 16, v6
	v_add_nc_u32_e32 v4, 8, v5
	v_lshlrev_b32_e32 v6, 2, v5
	v_cmp_gt_u32_e32 vcc_lo, 7, v5
	s_delay_alu instid0(VALU_DEP_3) | instskip(NEXT) | instid1(VALU_DEP_3)
	v_cmp_gt_u32_e64 s0, s1, v4
	v_mad_u32_u24 v4, v3, 60, v6
	s_delay_alu instid0(VALU_DEP_2)
	s_and_b32 s0, vcc_lo, s0
	s_waitcnt vmcnt(0)
	ds_store_b32 v4, v2
	; wave barrier
	s_and_saveexec_b32 s2, s0
	s_cbranch_execz .LBB78_2
; %bb.1:
	ds_load_2addr_b32 v[6:7], v4 offset1:8
	s_waitcnt lgkmcnt(0)
	v_add_nc_u32_e32 v2, v7, v6
.LBB78_2:
	s_or_b32 exec_lo, exec_lo, s2
	; wave barrier
	s_and_saveexec_b32 s2, s0
	s_cbranch_execz .LBB78_4
; %bb.3:
	ds_store_b32 v4, v2
.LBB78_4:
	s_or_b32 exec_lo, exec_lo, s2
	v_add_nc_u32_e32 v6, 4, v5
	v_cmp_gt_u32_e32 vcc_lo, 4, v5
	; wave barrier
	s_delay_alu instid0(VALU_DEP_2) | instskip(NEXT) | instid1(VALU_DEP_1)
	v_cmp_gt_u32_e64 s0, s1, v6
	s_and_b32 s0, vcc_lo, s0
	s_delay_alu instid0(SALU_CYCLE_1)
	s_and_saveexec_b32 s2, s0
	s_cbranch_execz .LBB78_6
; %bb.5:
	ds_load_2addr_b32 v[6:7], v4 offset1:4
	s_waitcnt lgkmcnt(0)
	v_add_nc_u32_e32 v2, v7, v6
.LBB78_6:
	s_or_b32 exec_lo, exec_lo, s2
	; wave barrier
	s_and_saveexec_b32 s2, s0
	s_cbranch_execz .LBB78_8
; %bb.7:
	ds_store_b32 v4, v2
.LBB78_8:
	s_or_b32 exec_lo, exec_lo, s2
	v_add_nc_u32_e32 v6, 2, v5
	v_cmp_gt_u32_e32 vcc_lo, 2, v5
	; wave barrier
	s_delay_alu instid0(VALU_DEP_2) | instskip(NEXT) | instid1(VALU_DEP_1)
	v_cmp_gt_u32_e64 s0, s1, v6
	s_and_b32 s0, vcc_lo, s0
	s_delay_alu instid0(SALU_CYCLE_1)
	s_and_saveexec_b32 s2, s0
	s_cbranch_execz .LBB78_10
; %bb.9:
	ds_load_2addr_b32 v[6:7], v4 offset1:2
	s_waitcnt lgkmcnt(0)
	v_add_nc_u32_e32 v2, v7, v6
.LBB78_10:
	s_or_b32 exec_lo, exec_lo, s2
	; wave barrier
	s_and_saveexec_b32 s2, s0
	s_cbranch_execz .LBB78_12
; %bb.11:
	ds_store_b32 v4, v2
.LBB78_12:
	s_or_b32 exec_lo, exec_lo, s2
	v_add_nc_u32_e32 v6, 1, v5
	v_cmp_eq_u32_e32 vcc_lo, 0, v5
	; wave barrier
	s_delay_alu instid0(VALU_DEP_2) | instskip(NEXT) | instid1(VALU_DEP_1)
	v_cmp_gt_u32_e64 s0, s1, v6
	s_and_b32 s0, vcc_lo, s0
	s_delay_alu instid0(SALU_CYCLE_1)
	s_and_saveexec_b32 s1, s0
	s_cbranch_execz .LBB78_14
; %bb.13:
	v_mul_u32_u24_e32 v2, 60, v3
	ds_load_b32 v5, v4
	ds_load_b32 v2, v2 offset:4
	s_waitcnt lgkmcnt(0)
	v_add_nc_u32_e32 v2, v2, v5
.LBB78_14:
	s_or_b32 exec_lo, exec_lo, s1
	; wave barrier
	s_and_saveexec_b32 s1, s0
	s_cbranch_execz .LBB78_16
; %bb.15:
	ds_store_b32 v4, v2
.LBB78_16:
	s_or_b32 exec_lo, exec_lo, s1
	v_mul_lo_u16 v3, v3, 15
	; wave barrier
	s_mov_b32 s0, exec_lo
	s_delay_alu instid0(VALU_DEP_1) | instskip(NEXT) | instid1(VALU_DEP_1)
	v_sub_nc_u16 v0, v0, v3
	v_cmpx_eq_u16_e32 0, v0
	s_cbranch_execz .LBB78_18
; %bb.17:
	v_mul_hi_u32 v0, 0x88888889, v1
	s_delay_alu instid0(VALU_DEP_1) | instskip(NEXT) | instid1(VALU_DEP_1)
	v_lshrrev_b32_e32 v0, 1, v0
	v_and_b32_e32 v0, 0x7ffffffc, v0
	global_store_b32 v0, v2, s[6:7]
.LBB78_18:
	s_nop 0
	s_sendmsg sendmsg(MSG_DEALLOC_VGPRS)
	s_endpgm
	.section	.rodata,"a",@progbits
	.p2align	6, 0x0
	.amdhsa_kernel _Z24warp_reduce_valid_kernelIiLj30ELj15EENSt9enable_ifIXsr10test_utilsE35device_test_enabled_for_warp_size_vIXT1_EEEvE4typeEPT_S4_i
		.amdhsa_group_segment_fixed_size 120
		.amdhsa_private_segment_fixed_size 0
		.amdhsa_kernarg_size 280
		.amdhsa_user_sgpr_count 15
		.amdhsa_user_sgpr_dispatch_ptr 0
		.amdhsa_user_sgpr_queue_ptr 0
		.amdhsa_user_sgpr_kernarg_segment_ptr 1
		.amdhsa_user_sgpr_dispatch_id 0
		.amdhsa_user_sgpr_private_segment_size 0
		.amdhsa_wavefront_size32 1
		.amdhsa_uses_dynamic_stack 0
		.amdhsa_enable_private_segment 0
		.amdhsa_system_sgpr_workgroup_id_x 1
		.amdhsa_system_sgpr_workgroup_id_y 0
		.amdhsa_system_sgpr_workgroup_id_z 0
		.amdhsa_system_sgpr_workgroup_info 0
		.amdhsa_system_vgpr_workitem_id 0
		.amdhsa_next_free_vgpr 8
		.amdhsa_next_free_sgpr 16
		.amdhsa_reserve_vcc 1
		.amdhsa_float_round_mode_32 0
		.amdhsa_float_round_mode_16_64 0
		.amdhsa_float_denorm_mode_32 3
		.amdhsa_float_denorm_mode_16_64 3
		.amdhsa_dx10_clamp 1
		.amdhsa_ieee_mode 1
		.amdhsa_fp16_overflow 0
		.amdhsa_workgroup_processor_mode 1
		.amdhsa_memory_ordered 1
		.amdhsa_forward_progress 0
		.amdhsa_shared_vgpr_count 0
		.amdhsa_exception_fp_ieee_invalid_op 0
		.amdhsa_exception_fp_denorm_src 0
		.amdhsa_exception_fp_ieee_div_zero 0
		.amdhsa_exception_fp_ieee_overflow 0
		.amdhsa_exception_fp_ieee_underflow 0
		.amdhsa_exception_fp_ieee_inexact 0
		.amdhsa_exception_int_div_zero 0
	.end_amdhsa_kernel
	.section	.text._Z24warp_reduce_valid_kernelIiLj30ELj15EENSt9enable_ifIXsr10test_utilsE35device_test_enabled_for_warp_size_vIXT1_EEEvE4typeEPT_S4_i,"axG",@progbits,_Z24warp_reduce_valid_kernelIiLj30ELj15EENSt9enable_ifIXsr10test_utilsE35device_test_enabled_for_warp_size_vIXT1_EEEvE4typeEPT_S4_i,comdat
.Lfunc_end78:
	.size	_Z24warp_reduce_valid_kernelIiLj30ELj15EENSt9enable_ifIXsr10test_utilsE35device_test_enabled_for_warp_size_vIXT1_EEEvE4typeEPT_S4_i, .Lfunc_end78-_Z24warp_reduce_valid_kernelIiLj30ELj15EENSt9enable_ifIXsr10test_utilsE35device_test_enabled_for_warp_size_vIXT1_EEEvE4typeEPT_S4_i
                                        ; -- End function
	.section	.AMDGPU.csdata,"",@progbits
; Kernel info:
; codeLenInByte = 556
; NumSgprs: 18
; NumVgprs: 8
; ScratchSize: 0
; MemoryBound: 0
; FloatMode: 240
; IeeeMode: 1
; LDSByteSize: 120 bytes/workgroup (compile time only)
; SGPRBlocks: 2
; VGPRBlocks: 0
; NumSGPRsForWavesPerEU: 18
; NumVGPRsForWavesPerEU: 8
; Occupancy: 16
; WaveLimiterHint : 0
; COMPUTE_PGM_RSRC2:SCRATCH_EN: 0
; COMPUTE_PGM_RSRC2:USER_SGPR: 15
; COMPUTE_PGM_RSRC2:TRAP_HANDLER: 0
; COMPUTE_PGM_RSRC2:TGID_X_EN: 1
; COMPUTE_PGM_RSRC2:TGID_Y_EN: 0
; COMPUTE_PGM_RSRC2:TGID_Z_EN: 0
; COMPUTE_PGM_RSRC2:TIDIG_COMP_CNT: 0
	.section	.text._Z24warp_reduce_valid_kernelIiLj60ELj15EENSt9enable_ifIXsr10test_utilsE35device_test_enabled_for_warp_size_vIXT1_EEEvE4typeEPT_S4_i,"axG",@progbits,_Z24warp_reduce_valid_kernelIiLj60ELj15EENSt9enable_ifIXsr10test_utilsE35device_test_enabled_for_warp_size_vIXT1_EEEvE4typeEPT_S4_i,comdat
	.protected	_Z24warp_reduce_valid_kernelIiLj60ELj15EENSt9enable_ifIXsr10test_utilsE35device_test_enabled_for_warp_size_vIXT1_EEEvE4typeEPT_S4_i ; -- Begin function _Z24warp_reduce_valid_kernelIiLj60ELj15EENSt9enable_ifIXsr10test_utilsE35device_test_enabled_for_warp_size_vIXT1_EEEvE4typeEPT_S4_i
	.globl	_Z24warp_reduce_valid_kernelIiLj60ELj15EENSt9enable_ifIXsr10test_utilsE35device_test_enabled_for_warp_size_vIXT1_EEEvE4typeEPT_S4_i
	.p2align	8
	.type	_Z24warp_reduce_valid_kernelIiLj60ELj15EENSt9enable_ifIXsr10test_utilsE35device_test_enabled_for_warp_size_vIXT1_EEEvE4typeEPT_S4_i,@function
_Z24warp_reduce_valid_kernelIiLj60ELj15EENSt9enable_ifIXsr10test_utilsE35device_test_enabled_for_warp_size_vIXT1_EEEvE4typeEPT_S4_i: ; @_Z24warp_reduce_valid_kernelIiLj60ELj15EENSt9enable_ifIXsr10test_utilsE35device_test_enabled_for_warp_size_vIXT1_EEEvE4typeEPT_S4_i
; %bb.0:
	s_clause 0x2
	s_load_b32 s2, s[0:1], 0x24
	s_load_b128 s[4:7], s[0:1], 0x0
	s_load_b32 s1, s[0:1], 0x10
	v_mul_u32_u24_e32 v6, 0x1112, v0
	s_waitcnt lgkmcnt(0)
	s_and_b32 s2, s2, 0xffff
	s_delay_alu instid0(SALU_CYCLE_1) | instskip(SKIP_1) | instid1(VALU_DEP_1)
	v_mad_u64_u32 v[1:2], null, s15, s2, v[0:1]
	v_mov_b32_e32 v2, 0
	v_lshlrev_b64 v[2:3], 2, v[1:2]
	s_delay_alu instid0(VALU_DEP_1) | instskip(NEXT) | instid1(VALU_DEP_2)
	v_add_co_u32 v2, vcc_lo, s4, v2
	v_add_co_ci_u32_e32 v3, vcc_lo, s5, v3, vcc_lo
	global_load_b32 v2, v[2:3], off
	v_mbcnt_lo_u32_b32 v3, -1, 0
	s_delay_alu instid0(VALU_DEP_1) | instskip(NEXT) | instid1(VALU_DEP_1)
	v_mul_hi_u32 v4, 0x11111112, v3
	v_mul_u32_u24_e32 v4, 15, v4
	s_delay_alu instid0(VALU_DEP_1) | instskip(SKIP_1) | instid1(VALU_DEP_2)
	v_sub_nc_u32_e32 v5, v3, v4
	v_lshrrev_b32_e32 v3, 16, v6
	v_add_nc_u32_e32 v4, 8, v5
	v_lshlrev_b32_e32 v6, 2, v5
	v_cmp_gt_u32_e32 vcc_lo, 7, v5
	s_delay_alu instid0(VALU_DEP_3) | instskip(NEXT) | instid1(VALU_DEP_3)
	v_cmp_gt_u32_e64 s0, s1, v4
	v_mad_u32_u24 v4, v3, 60, v6
	s_delay_alu instid0(VALU_DEP_2)
	s_and_b32 s0, vcc_lo, s0
	s_waitcnt vmcnt(0)
	ds_store_b32 v4, v2
	; wave barrier
	s_and_saveexec_b32 s2, s0
	s_cbranch_execz .LBB79_2
; %bb.1:
	ds_load_2addr_b32 v[6:7], v4 offset1:8
	s_waitcnt lgkmcnt(0)
	v_add_nc_u32_e32 v2, v7, v6
.LBB79_2:
	s_or_b32 exec_lo, exec_lo, s2
	; wave barrier
	s_and_saveexec_b32 s2, s0
	s_cbranch_execz .LBB79_4
; %bb.3:
	ds_store_b32 v4, v2
.LBB79_4:
	s_or_b32 exec_lo, exec_lo, s2
	v_add_nc_u32_e32 v6, 4, v5
	v_cmp_gt_u32_e32 vcc_lo, 4, v5
	; wave barrier
	s_delay_alu instid0(VALU_DEP_2) | instskip(NEXT) | instid1(VALU_DEP_1)
	v_cmp_gt_u32_e64 s0, s1, v6
	s_and_b32 s0, vcc_lo, s0
	s_delay_alu instid0(SALU_CYCLE_1)
	s_and_saveexec_b32 s2, s0
	s_cbranch_execz .LBB79_6
; %bb.5:
	ds_load_2addr_b32 v[6:7], v4 offset1:4
	s_waitcnt lgkmcnt(0)
	v_add_nc_u32_e32 v2, v7, v6
.LBB79_6:
	s_or_b32 exec_lo, exec_lo, s2
	; wave barrier
	s_and_saveexec_b32 s2, s0
	s_cbranch_execz .LBB79_8
; %bb.7:
	ds_store_b32 v4, v2
.LBB79_8:
	s_or_b32 exec_lo, exec_lo, s2
	v_add_nc_u32_e32 v6, 2, v5
	v_cmp_gt_u32_e32 vcc_lo, 2, v5
	; wave barrier
	s_delay_alu instid0(VALU_DEP_2) | instskip(NEXT) | instid1(VALU_DEP_1)
	v_cmp_gt_u32_e64 s0, s1, v6
	s_and_b32 s0, vcc_lo, s0
	s_delay_alu instid0(SALU_CYCLE_1)
	s_and_saveexec_b32 s2, s0
	s_cbranch_execz .LBB79_10
; %bb.9:
	ds_load_2addr_b32 v[6:7], v4 offset1:2
	s_waitcnt lgkmcnt(0)
	v_add_nc_u32_e32 v2, v7, v6
.LBB79_10:
	s_or_b32 exec_lo, exec_lo, s2
	; wave barrier
	s_and_saveexec_b32 s2, s0
	s_cbranch_execz .LBB79_12
; %bb.11:
	ds_store_b32 v4, v2
.LBB79_12:
	s_or_b32 exec_lo, exec_lo, s2
	v_add_nc_u32_e32 v6, 1, v5
	v_cmp_eq_u32_e32 vcc_lo, 0, v5
	; wave barrier
	s_delay_alu instid0(VALU_DEP_2) | instskip(NEXT) | instid1(VALU_DEP_1)
	v_cmp_gt_u32_e64 s0, s1, v6
	s_and_b32 s0, vcc_lo, s0
	s_delay_alu instid0(SALU_CYCLE_1)
	s_and_saveexec_b32 s1, s0
	s_cbranch_execz .LBB79_14
; %bb.13:
	v_mul_u32_u24_e32 v2, 60, v3
	ds_load_b32 v5, v4
	ds_load_b32 v2, v2 offset:4
	s_waitcnt lgkmcnt(0)
	v_add_nc_u32_e32 v2, v2, v5
.LBB79_14:
	s_or_b32 exec_lo, exec_lo, s1
	; wave barrier
	s_and_saveexec_b32 s1, s0
	s_cbranch_execz .LBB79_16
; %bb.15:
	ds_store_b32 v4, v2
.LBB79_16:
	s_or_b32 exec_lo, exec_lo, s1
	v_mul_lo_u16 v3, v3, 15
	; wave barrier
	s_mov_b32 s0, exec_lo
	s_delay_alu instid0(VALU_DEP_1) | instskip(NEXT) | instid1(VALU_DEP_1)
	v_sub_nc_u16 v0, v0, v3
	v_cmpx_eq_u16_e32 0, v0
	s_cbranch_execz .LBB79_18
; %bb.17:
	v_mul_hi_u32 v0, 0x88888889, v1
	s_delay_alu instid0(VALU_DEP_1) | instskip(NEXT) | instid1(VALU_DEP_1)
	v_lshrrev_b32_e32 v0, 1, v0
	v_and_b32_e32 v0, 0x7ffffffc, v0
	global_store_b32 v0, v2, s[6:7]
.LBB79_18:
	s_nop 0
	s_sendmsg sendmsg(MSG_DEALLOC_VGPRS)
	s_endpgm
	.section	.rodata,"a",@progbits
	.p2align	6, 0x0
	.amdhsa_kernel _Z24warp_reduce_valid_kernelIiLj60ELj15EENSt9enable_ifIXsr10test_utilsE35device_test_enabled_for_warp_size_vIXT1_EEEvE4typeEPT_S4_i
		.amdhsa_group_segment_fixed_size 240
		.amdhsa_private_segment_fixed_size 0
		.amdhsa_kernarg_size 280
		.amdhsa_user_sgpr_count 15
		.amdhsa_user_sgpr_dispatch_ptr 0
		.amdhsa_user_sgpr_queue_ptr 0
		.amdhsa_user_sgpr_kernarg_segment_ptr 1
		.amdhsa_user_sgpr_dispatch_id 0
		.amdhsa_user_sgpr_private_segment_size 0
		.amdhsa_wavefront_size32 1
		.amdhsa_uses_dynamic_stack 0
		.amdhsa_enable_private_segment 0
		.amdhsa_system_sgpr_workgroup_id_x 1
		.amdhsa_system_sgpr_workgroup_id_y 0
		.amdhsa_system_sgpr_workgroup_id_z 0
		.amdhsa_system_sgpr_workgroup_info 0
		.amdhsa_system_vgpr_workitem_id 0
		.amdhsa_next_free_vgpr 8
		.amdhsa_next_free_sgpr 16
		.amdhsa_reserve_vcc 1
		.amdhsa_float_round_mode_32 0
		.amdhsa_float_round_mode_16_64 0
		.amdhsa_float_denorm_mode_32 3
		.amdhsa_float_denorm_mode_16_64 3
		.amdhsa_dx10_clamp 1
		.amdhsa_ieee_mode 1
		.amdhsa_fp16_overflow 0
		.amdhsa_workgroup_processor_mode 1
		.amdhsa_memory_ordered 1
		.amdhsa_forward_progress 0
		.amdhsa_shared_vgpr_count 0
		.amdhsa_exception_fp_ieee_invalid_op 0
		.amdhsa_exception_fp_denorm_src 0
		.amdhsa_exception_fp_ieee_div_zero 0
		.amdhsa_exception_fp_ieee_overflow 0
		.amdhsa_exception_fp_ieee_underflow 0
		.amdhsa_exception_fp_ieee_inexact 0
		.amdhsa_exception_int_div_zero 0
	.end_amdhsa_kernel
	.section	.text._Z24warp_reduce_valid_kernelIiLj60ELj15EENSt9enable_ifIXsr10test_utilsE35device_test_enabled_for_warp_size_vIXT1_EEEvE4typeEPT_S4_i,"axG",@progbits,_Z24warp_reduce_valid_kernelIiLj60ELj15EENSt9enable_ifIXsr10test_utilsE35device_test_enabled_for_warp_size_vIXT1_EEEvE4typeEPT_S4_i,comdat
.Lfunc_end79:
	.size	_Z24warp_reduce_valid_kernelIiLj60ELj15EENSt9enable_ifIXsr10test_utilsE35device_test_enabled_for_warp_size_vIXT1_EEEvE4typeEPT_S4_i, .Lfunc_end79-_Z24warp_reduce_valid_kernelIiLj60ELj15EENSt9enable_ifIXsr10test_utilsE35device_test_enabled_for_warp_size_vIXT1_EEEvE4typeEPT_S4_i
                                        ; -- End function
	.section	.AMDGPU.csdata,"",@progbits
; Kernel info:
; codeLenInByte = 556
; NumSgprs: 18
; NumVgprs: 8
; ScratchSize: 0
; MemoryBound: 0
; FloatMode: 240
; IeeeMode: 1
; LDSByteSize: 240 bytes/workgroup (compile time only)
; SGPRBlocks: 2
; VGPRBlocks: 0
; NumSGPRsForWavesPerEU: 18
; NumVGPRsForWavesPerEU: 8
; Occupancy: 16
; WaveLimiterHint : 0
; COMPUTE_PGM_RSRC2:SCRATCH_EN: 0
; COMPUTE_PGM_RSRC2:USER_SGPR: 15
; COMPUTE_PGM_RSRC2:TRAP_HANDLER: 0
; COMPUTE_PGM_RSRC2:TGID_X_EN: 1
; COMPUTE_PGM_RSRC2:TGID_Y_EN: 0
; COMPUTE_PGM_RSRC2:TGID_Z_EN: 0
; COMPUTE_PGM_RSRC2:TIDIG_COMP_CNT: 0
	.section	.text._Z24warp_reduce_valid_kernelIiLj28ELj7EENSt9enable_ifIXsr10test_utilsE35device_test_enabled_for_warp_size_vIXT1_EEEvE4typeEPT_S4_i,"axG",@progbits,_Z24warp_reduce_valid_kernelIiLj28ELj7EENSt9enable_ifIXsr10test_utilsE35device_test_enabled_for_warp_size_vIXT1_EEEvE4typeEPT_S4_i,comdat
	.protected	_Z24warp_reduce_valid_kernelIiLj28ELj7EENSt9enable_ifIXsr10test_utilsE35device_test_enabled_for_warp_size_vIXT1_EEEvE4typeEPT_S4_i ; -- Begin function _Z24warp_reduce_valid_kernelIiLj28ELj7EENSt9enable_ifIXsr10test_utilsE35device_test_enabled_for_warp_size_vIXT1_EEEvE4typeEPT_S4_i
	.globl	_Z24warp_reduce_valid_kernelIiLj28ELj7EENSt9enable_ifIXsr10test_utilsE35device_test_enabled_for_warp_size_vIXT1_EEEvE4typeEPT_S4_i
	.p2align	8
	.type	_Z24warp_reduce_valid_kernelIiLj28ELj7EENSt9enable_ifIXsr10test_utilsE35device_test_enabled_for_warp_size_vIXT1_EEEvE4typeEPT_S4_i,@function
_Z24warp_reduce_valid_kernelIiLj28ELj7EENSt9enable_ifIXsr10test_utilsE35device_test_enabled_for_warp_size_vIXT1_EEEvE4typeEPT_S4_i: ; @_Z24warp_reduce_valid_kernelIiLj28ELj7EENSt9enable_ifIXsr10test_utilsE35device_test_enabled_for_warp_size_vIXT1_EEEvE4typeEPT_S4_i
; %bb.0:
	s_clause 0x2
	s_load_b32 s2, s[0:1], 0x24
	s_load_b128 s[4:7], s[0:1], 0x0
	s_load_b32 s1, s[0:1], 0x10
	v_mul_u32_u24_e32 v6, 0x2493, v0
	s_waitcnt lgkmcnt(0)
	s_and_b32 s2, s2, 0xffff
	s_delay_alu instid0(SALU_CYCLE_1) | instskip(SKIP_1) | instid1(VALU_DEP_1)
	v_mad_u64_u32 v[1:2], null, s15, s2, v[0:1]
	v_mov_b32_e32 v2, 0
	v_lshlrev_b64 v[2:3], 2, v[1:2]
	s_delay_alu instid0(VALU_DEP_1) | instskip(NEXT) | instid1(VALU_DEP_2)
	v_add_co_u32 v2, vcc_lo, s4, v2
	v_add_co_ci_u32_e32 v3, vcc_lo, s5, v3, vcc_lo
	global_load_b32 v2, v[2:3], off
	v_mbcnt_lo_u32_b32 v3, -1, 0
	s_delay_alu instid0(VALU_DEP_1) | instskip(NEXT) | instid1(VALU_DEP_1)
	v_mul_hi_u32 v4, 0x24924925, v3
	v_mul_u32_u24_e32 v4, 7, v4
	s_delay_alu instid0(VALU_DEP_1) | instskip(SKIP_1) | instid1(VALU_DEP_2)
	v_sub_nc_u32_e32 v5, v3, v4
	v_lshrrev_b32_e32 v3, 16, v6
	v_add_nc_u32_e32 v4, 4, v5
	v_lshlrev_b32_e32 v6, 2, v5
	v_cmp_gt_u32_e32 vcc_lo, 3, v5
	s_delay_alu instid0(VALU_DEP_3) | instskip(NEXT) | instid1(VALU_DEP_3)
	v_cmp_gt_u32_e64 s0, s1, v4
	v_mad_u32_u24 v4, v3, 28, v6
	s_delay_alu instid0(VALU_DEP_2)
	s_and_b32 s0, vcc_lo, s0
	s_waitcnt vmcnt(0)
	ds_store_b32 v4, v2
	; wave barrier
	s_and_saveexec_b32 s2, s0
	s_cbranch_execz .LBB80_2
; %bb.1:
	ds_load_2addr_b32 v[6:7], v4 offset1:4
	s_waitcnt lgkmcnt(0)
	v_add_nc_u32_e32 v2, v7, v6
.LBB80_2:
	s_or_b32 exec_lo, exec_lo, s2
	; wave barrier
	s_and_saveexec_b32 s2, s0
	s_cbranch_execz .LBB80_4
; %bb.3:
	ds_store_b32 v4, v2
.LBB80_4:
	s_or_b32 exec_lo, exec_lo, s2
	v_add_nc_u32_e32 v6, 2, v5
	v_cmp_gt_u32_e32 vcc_lo, 2, v5
	; wave barrier
	s_delay_alu instid0(VALU_DEP_2) | instskip(NEXT) | instid1(VALU_DEP_1)
	v_cmp_gt_u32_e64 s0, s1, v6
	s_and_b32 s0, vcc_lo, s0
	s_delay_alu instid0(SALU_CYCLE_1)
	s_and_saveexec_b32 s2, s0
	s_cbranch_execz .LBB80_6
; %bb.5:
	ds_load_2addr_b32 v[6:7], v4 offset1:2
	s_waitcnt lgkmcnt(0)
	v_add_nc_u32_e32 v2, v7, v6
.LBB80_6:
	s_or_b32 exec_lo, exec_lo, s2
	; wave barrier
	s_and_saveexec_b32 s2, s0
	s_cbranch_execz .LBB80_8
; %bb.7:
	ds_store_b32 v4, v2
.LBB80_8:
	s_or_b32 exec_lo, exec_lo, s2
	v_add_nc_u32_e32 v6, 1, v5
	v_cmp_eq_u32_e32 vcc_lo, 0, v5
	; wave barrier
	s_delay_alu instid0(VALU_DEP_2) | instskip(NEXT) | instid1(VALU_DEP_1)
	v_cmp_gt_u32_e64 s0, s1, v6
	s_and_b32 s0, vcc_lo, s0
	s_delay_alu instid0(SALU_CYCLE_1)
	s_and_saveexec_b32 s1, s0
	s_cbranch_execz .LBB80_10
; %bb.9:
	v_mul_u32_u24_e32 v2, 28, v3
	ds_load_b32 v5, v4
	ds_load_b32 v2, v2 offset:4
	s_waitcnt lgkmcnt(0)
	v_add_nc_u32_e32 v2, v2, v5
.LBB80_10:
	s_or_b32 exec_lo, exec_lo, s1
	; wave barrier
	s_and_saveexec_b32 s1, s0
	s_cbranch_execz .LBB80_12
; %bb.11:
	ds_store_b32 v4, v2
.LBB80_12:
	s_or_b32 exec_lo, exec_lo, s1
	v_mul_lo_u16 v3, v3, 7
	; wave barrier
	s_mov_b32 s0, exec_lo
	s_delay_alu instid0(VALU_DEP_1) | instskip(NEXT) | instid1(VALU_DEP_1)
	v_sub_nc_u16 v0, v0, v3
	v_cmpx_eq_u16_e32 0, v0
	s_cbranch_execz .LBB80_14
; %bb.13:
	v_mul_hi_u32 v0, 0x24924925, v1
	s_delay_alu instid0(VALU_DEP_1) | instskip(NEXT) | instid1(VALU_DEP_1)
	v_sub_nc_u32_e32 v1, v1, v0
	v_lshrrev_b32_e32 v1, 1, v1
	s_delay_alu instid0(VALU_DEP_1) | instskip(NEXT) | instid1(VALU_DEP_1)
	v_add_nc_u32_e32 v0, v1, v0
	v_and_b32_e32 v0, -4, v0
	global_store_b32 v0, v2, s[6:7]
.LBB80_14:
	s_nop 0
	s_sendmsg sendmsg(MSG_DEALLOC_VGPRS)
	s_endpgm
	.section	.rodata,"a",@progbits
	.p2align	6, 0x0
	.amdhsa_kernel _Z24warp_reduce_valid_kernelIiLj28ELj7EENSt9enable_ifIXsr10test_utilsE35device_test_enabled_for_warp_size_vIXT1_EEEvE4typeEPT_S4_i
		.amdhsa_group_segment_fixed_size 112
		.amdhsa_private_segment_fixed_size 0
		.amdhsa_kernarg_size 280
		.amdhsa_user_sgpr_count 15
		.amdhsa_user_sgpr_dispatch_ptr 0
		.amdhsa_user_sgpr_queue_ptr 0
		.amdhsa_user_sgpr_kernarg_segment_ptr 1
		.amdhsa_user_sgpr_dispatch_id 0
		.amdhsa_user_sgpr_private_segment_size 0
		.amdhsa_wavefront_size32 1
		.amdhsa_uses_dynamic_stack 0
		.amdhsa_enable_private_segment 0
		.amdhsa_system_sgpr_workgroup_id_x 1
		.amdhsa_system_sgpr_workgroup_id_y 0
		.amdhsa_system_sgpr_workgroup_id_z 0
		.amdhsa_system_sgpr_workgroup_info 0
		.amdhsa_system_vgpr_workitem_id 0
		.amdhsa_next_free_vgpr 8
		.amdhsa_next_free_sgpr 16
		.amdhsa_reserve_vcc 1
		.amdhsa_float_round_mode_32 0
		.amdhsa_float_round_mode_16_64 0
		.amdhsa_float_denorm_mode_32 3
		.amdhsa_float_denorm_mode_16_64 3
		.amdhsa_dx10_clamp 1
		.amdhsa_ieee_mode 1
		.amdhsa_fp16_overflow 0
		.amdhsa_workgroup_processor_mode 1
		.amdhsa_memory_ordered 1
		.amdhsa_forward_progress 0
		.amdhsa_shared_vgpr_count 0
		.amdhsa_exception_fp_ieee_invalid_op 0
		.amdhsa_exception_fp_denorm_src 0
		.amdhsa_exception_fp_ieee_div_zero 0
		.amdhsa_exception_fp_ieee_overflow 0
		.amdhsa_exception_fp_ieee_underflow 0
		.amdhsa_exception_fp_ieee_inexact 0
		.amdhsa_exception_int_div_zero 0
	.end_amdhsa_kernel
	.section	.text._Z24warp_reduce_valid_kernelIiLj28ELj7EENSt9enable_ifIXsr10test_utilsE35device_test_enabled_for_warp_size_vIXT1_EEEvE4typeEPT_S4_i,"axG",@progbits,_Z24warp_reduce_valid_kernelIiLj28ELj7EENSt9enable_ifIXsr10test_utilsE35device_test_enabled_for_warp_size_vIXT1_EEEvE4typeEPT_S4_i,comdat
.Lfunc_end80:
	.size	_Z24warp_reduce_valid_kernelIiLj28ELj7EENSt9enable_ifIXsr10test_utilsE35device_test_enabled_for_warp_size_vIXT1_EEEvE4typeEPT_S4_i, .Lfunc_end80-_Z24warp_reduce_valid_kernelIiLj28ELj7EENSt9enable_ifIXsr10test_utilsE35device_test_enabled_for_warp_size_vIXT1_EEEvE4typeEPT_S4_i
                                        ; -- End function
	.section	.AMDGPU.csdata,"",@progbits
; Kernel info:
; codeLenInByte = 488
; NumSgprs: 18
; NumVgprs: 8
; ScratchSize: 0
; MemoryBound: 0
; FloatMode: 240
; IeeeMode: 1
; LDSByteSize: 112 bytes/workgroup (compile time only)
; SGPRBlocks: 2
; VGPRBlocks: 0
; NumSGPRsForWavesPerEU: 18
; NumVGPRsForWavesPerEU: 8
; Occupancy: 16
; WaveLimiterHint : 0
; COMPUTE_PGM_RSRC2:SCRATCH_EN: 0
; COMPUTE_PGM_RSRC2:USER_SGPR: 15
; COMPUTE_PGM_RSRC2:TRAP_HANDLER: 0
; COMPUTE_PGM_RSRC2:TGID_X_EN: 1
; COMPUTE_PGM_RSRC2:TGID_Y_EN: 0
; COMPUTE_PGM_RSRC2:TGID_Z_EN: 0
; COMPUTE_PGM_RSRC2:TIDIG_COMP_CNT: 0
	.section	.text._Z24warp_reduce_valid_kernelIiLj63ELj7EENSt9enable_ifIXsr10test_utilsE35device_test_enabled_for_warp_size_vIXT1_EEEvE4typeEPT_S4_i,"axG",@progbits,_Z24warp_reduce_valid_kernelIiLj63ELj7EENSt9enable_ifIXsr10test_utilsE35device_test_enabled_for_warp_size_vIXT1_EEEvE4typeEPT_S4_i,comdat
	.protected	_Z24warp_reduce_valid_kernelIiLj63ELj7EENSt9enable_ifIXsr10test_utilsE35device_test_enabled_for_warp_size_vIXT1_EEEvE4typeEPT_S4_i ; -- Begin function _Z24warp_reduce_valid_kernelIiLj63ELj7EENSt9enable_ifIXsr10test_utilsE35device_test_enabled_for_warp_size_vIXT1_EEEvE4typeEPT_S4_i
	.globl	_Z24warp_reduce_valid_kernelIiLj63ELj7EENSt9enable_ifIXsr10test_utilsE35device_test_enabled_for_warp_size_vIXT1_EEEvE4typeEPT_S4_i
	.p2align	8
	.type	_Z24warp_reduce_valid_kernelIiLj63ELj7EENSt9enable_ifIXsr10test_utilsE35device_test_enabled_for_warp_size_vIXT1_EEEvE4typeEPT_S4_i,@function
_Z24warp_reduce_valid_kernelIiLj63ELj7EENSt9enable_ifIXsr10test_utilsE35device_test_enabled_for_warp_size_vIXT1_EEEvE4typeEPT_S4_i: ; @_Z24warp_reduce_valid_kernelIiLj63ELj7EENSt9enable_ifIXsr10test_utilsE35device_test_enabled_for_warp_size_vIXT1_EEEvE4typeEPT_S4_i
; %bb.0:
	s_clause 0x2
	s_load_b32 s2, s[0:1], 0x24
	s_load_b128 s[4:7], s[0:1], 0x0
	s_load_b32 s1, s[0:1], 0x10
	v_mul_u32_u24_e32 v6, 0x2493, v0
	s_waitcnt lgkmcnt(0)
	s_and_b32 s2, s2, 0xffff
	s_delay_alu instid0(SALU_CYCLE_1) | instskip(SKIP_1) | instid1(VALU_DEP_1)
	v_mad_u64_u32 v[1:2], null, s15, s2, v[0:1]
	v_mov_b32_e32 v2, 0
	v_lshlrev_b64 v[2:3], 2, v[1:2]
	s_delay_alu instid0(VALU_DEP_1) | instskip(NEXT) | instid1(VALU_DEP_2)
	v_add_co_u32 v2, vcc_lo, s4, v2
	v_add_co_ci_u32_e32 v3, vcc_lo, s5, v3, vcc_lo
	global_load_b32 v2, v[2:3], off
	v_mbcnt_lo_u32_b32 v3, -1, 0
	s_delay_alu instid0(VALU_DEP_1) | instskip(NEXT) | instid1(VALU_DEP_1)
	v_mul_hi_u32 v4, 0x24924925, v3
	v_mul_u32_u24_e32 v4, 7, v4
	s_delay_alu instid0(VALU_DEP_1) | instskip(SKIP_1) | instid1(VALU_DEP_2)
	v_sub_nc_u32_e32 v5, v3, v4
	v_lshrrev_b32_e32 v3, 16, v6
	v_add_nc_u32_e32 v4, 4, v5
	v_lshlrev_b32_e32 v6, 2, v5
	v_cmp_gt_u32_e32 vcc_lo, 3, v5
	s_delay_alu instid0(VALU_DEP_3) | instskip(NEXT) | instid1(VALU_DEP_3)
	v_cmp_gt_u32_e64 s0, s1, v4
	v_mad_u32_u24 v4, v3, 28, v6
	s_delay_alu instid0(VALU_DEP_2)
	s_and_b32 s0, vcc_lo, s0
	s_waitcnt vmcnt(0)
	ds_store_b32 v4, v2
	; wave barrier
	s_and_saveexec_b32 s2, s0
	s_cbranch_execz .LBB81_2
; %bb.1:
	ds_load_2addr_b32 v[6:7], v4 offset1:4
	s_waitcnt lgkmcnt(0)
	v_add_nc_u32_e32 v2, v7, v6
.LBB81_2:
	s_or_b32 exec_lo, exec_lo, s2
	; wave barrier
	s_and_saveexec_b32 s2, s0
	s_cbranch_execz .LBB81_4
; %bb.3:
	ds_store_b32 v4, v2
.LBB81_4:
	s_or_b32 exec_lo, exec_lo, s2
	v_add_nc_u32_e32 v6, 2, v5
	v_cmp_gt_u32_e32 vcc_lo, 2, v5
	; wave barrier
	s_delay_alu instid0(VALU_DEP_2) | instskip(NEXT) | instid1(VALU_DEP_1)
	v_cmp_gt_u32_e64 s0, s1, v6
	s_and_b32 s0, vcc_lo, s0
	s_delay_alu instid0(SALU_CYCLE_1)
	s_and_saveexec_b32 s2, s0
	s_cbranch_execz .LBB81_6
; %bb.5:
	ds_load_2addr_b32 v[6:7], v4 offset1:2
	s_waitcnt lgkmcnt(0)
	v_add_nc_u32_e32 v2, v7, v6
.LBB81_6:
	s_or_b32 exec_lo, exec_lo, s2
	; wave barrier
	s_and_saveexec_b32 s2, s0
	s_cbranch_execz .LBB81_8
; %bb.7:
	ds_store_b32 v4, v2
.LBB81_8:
	s_or_b32 exec_lo, exec_lo, s2
	v_add_nc_u32_e32 v6, 1, v5
	v_cmp_eq_u32_e32 vcc_lo, 0, v5
	; wave barrier
	s_delay_alu instid0(VALU_DEP_2) | instskip(NEXT) | instid1(VALU_DEP_1)
	v_cmp_gt_u32_e64 s0, s1, v6
	s_and_b32 s0, vcc_lo, s0
	s_delay_alu instid0(SALU_CYCLE_1)
	s_and_saveexec_b32 s1, s0
	s_cbranch_execz .LBB81_10
; %bb.9:
	v_mul_u32_u24_e32 v2, 28, v3
	ds_load_b32 v5, v4
	ds_load_b32 v2, v2 offset:4
	s_waitcnt lgkmcnt(0)
	v_add_nc_u32_e32 v2, v2, v5
.LBB81_10:
	s_or_b32 exec_lo, exec_lo, s1
	; wave barrier
	s_and_saveexec_b32 s1, s0
	s_cbranch_execz .LBB81_12
; %bb.11:
	ds_store_b32 v4, v2
.LBB81_12:
	s_or_b32 exec_lo, exec_lo, s1
	v_mul_lo_u16 v3, v3, 7
	; wave barrier
	s_mov_b32 s0, exec_lo
	s_delay_alu instid0(VALU_DEP_1) | instskip(NEXT) | instid1(VALU_DEP_1)
	v_sub_nc_u16 v0, v0, v3
	v_cmpx_eq_u16_e32 0, v0
	s_cbranch_execz .LBB81_14
; %bb.13:
	v_mul_hi_u32 v0, 0x24924925, v1
	s_delay_alu instid0(VALU_DEP_1) | instskip(NEXT) | instid1(VALU_DEP_1)
	v_sub_nc_u32_e32 v1, v1, v0
	v_lshrrev_b32_e32 v1, 1, v1
	s_delay_alu instid0(VALU_DEP_1) | instskip(NEXT) | instid1(VALU_DEP_1)
	v_add_nc_u32_e32 v0, v1, v0
	v_and_b32_e32 v0, -4, v0
	global_store_b32 v0, v2, s[6:7]
.LBB81_14:
	s_nop 0
	s_sendmsg sendmsg(MSG_DEALLOC_VGPRS)
	s_endpgm
	.section	.rodata,"a",@progbits
	.p2align	6, 0x0
	.amdhsa_kernel _Z24warp_reduce_valid_kernelIiLj63ELj7EENSt9enable_ifIXsr10test_utilsE35device_test_enabled_for_warp_size_vIXT1_EEEvE4typeEPT_S4_i
		.amdhsa_group_segment_fixed_size 252
		.amdhsa_private_segment_fixed_size 0
		.amdhsa_kernarg_size 280
		.amdhsa_user_sgpr_count 15
		.amdhsa_user_sgpr_dispatch_ptr 0
		.amdhsa_user_sgpr_queue_ptr 0
		.amdhsa_user_sgpr_kernarg_segment_ptr 1
		.amdhsa_user_sgpr_dispatch_id 0
		.amdhsa_user_sgpr_private_segment_size 0
		.amdhsa_wavefront_size32 1
		.amdhsa_uses_dynamic_stack 0
		.amdhsa_enable_private_segment 0
		.amdhsa_system_sgpr_workgroup_id_x 1
		.amdhsa_system_sgpr_workgroup_id_y 0
		.amdhsa_system_sgpr_workgroup_id_z 0
		.amdhsa_system_sgpr_workgroup_info 0
		.amdhsa_system_vgpr_workitem_id 0
		.amdhsa_next_free_vgpr 8
		.amdhsa_next_free_sgpr 16
		.amdhsa_reserve_vcc 1
		.amdhsa_float_round_mode_32 0
		.amdhsa_float_round_mode_16_64 0
		.amdhsa_float_denorm_mode_32 3
		.amdhsa_float_denorm_mode_16_64 3
		.amdhsa_dx10_clamp 1
		.amdhsa_ieee_mode 1
		.amdhsa_fp16_overflow 0
		.amdhsa_workgroup_processor_mode 1
		.amdhsa_memory_ordered 1
		.amdhsa_forward_progress 0
		.amdhsa_shared_vgpr_count 0
		.amdhsa_exception_fp_ieee_invalid_op 0
		.amdhsa_exception_fp_denorm_src 0
		.amdhsa_exception_fp_ieee_div_zero 0
		.amdhsa_exception_fp_ieee_overflow 0
		.amdhsa_exception_fp_ieee_underflow 0
		.amdhsa_exception_fp_ieee_inexact 0
		.amdhsa_exception_int_div_zero 0
	.end_amdhsa_kernel
	.section	.text._Z24warp_reduce_valid_kernelIiLj63ELj7EENSt9enable_ifIXsr10test_utilsE35device_test_enabled_for_warp_size_vIXT1_EEEvE4typeEPT_S4_i,"axG",@progbits,_Z24warp_reduce_valid_kernelIiLj63ELj7EENSt9enable_ifIXsr10test_utilsE35device_test_enabled_for_warp_size_vIXT1_EEEvE4typeEPT_S4_i,comdat
.Lfunc_end81:
	.size	_Z24warp_reduce_valid_kernelIiLj63ELj7EENSt9enable_ifIXsr10test_utilsE35device_test_enabled_for_warp_size_vIXT1_EEEvE4typeEPT_S4_i, .Lfunc_end81-_Z24warp_reduce_valid_kernelIiLj63ELj7EENSt9enable_ifIXsr10test_utilsE35device_test_enabled_for_warp_size_vIXT1_EEEvE4typeEPT_S4_i
                                        ; -- End function
	.section	.AMDGPU.csdata,"",@progbits
; Kernel info:
; codeLenInByte = 488
; NumSgprs: 18
; NumVgprs: 8
; ScratchSize: 0
; MemoryBound: 0
; FloatMode: 240
; IeeeMode: 1
; LDSByteSize: 252 bytes/workgroup (compile time only)
; SGPRBlocks: 2
; VGPRBlocks: 0
; NumSGPRsForWavesPerEU: 18
; NumVGPRsForWavesPerEU: 8
; Occupancy: 16
; WaveLimiterHint : 0
; COMPUTE_PGM_RSRC2:SCRATCH_EN: 0
; COMPUTE_PGM_RSRC2:USER_SGPR: 15
; COMPUTE_PGM_RSRC2:TRAP_HANDLER: 0
; COMPUTE_PGM_RSRC2:TGID_X_EN: 1
; COMPUTE_PGM_RSRC2:TGID_Y_EN: 0
; COMPUTE_PGM_RSRC2:TGID_Z_EN: 0
; COMPUTE_PGM_RSRC2:TIDIG_COMP_CNT: 0
	.section	.text._Z24warp_reduce_valid_kernelIiLj30ELj3EENSt9enable_ifIXsr10test_utilsE35device_test_enabled_for_warp_size_vIXT1_EEEvE4typeEPT_S4_i,"axG",@progbits,_Z24warp_reduce_valid_kernelIiLj30ELj3EENSt9enable_ifIXsr10test_utilsE35device_test_enabled_for_warp_size_vIXT1_EEEvE4typeEPT_S4_i,comdat
	.protected	_Z24warp_reduce_valid_kernelIiLj30ELj3EENSt9enable_ifIXsr10test_utilsE35device_test_enabled_for_warp_size_vIXT1_EEEvE4typeEPT_S4_i ; -- Begin function _Z24warp_reduce_valid_kernelIiLj30ELj3EENSt9enable_ifIXsr10test_utilsE35device_test_enabled_for_warp_size_vIXT1_EEEvE4typeEPT_S4_i
	.globl	_Z24warp_reduce_valid_kernelIiLj30ELj3EENSt9enable_ifIXsr10test_utilsE35device_test_enabled_for_warp_size_vIXT1_EEEvE4typeEPT_S4_i
	.p2align	8
	.type	_Z24warp_reduce_valid_kernelIiLj30ELj3EENSt9enable_ifIXsr10test_utilsE35device_test_enabled_for_warp_size_vIXT1_EEEvE4typeEPT_S4_i,@function
_Z24warp_reduce_valid_kernelIiLj30ELj3EENSt9enable_ifIXsr10test_utilsE35device_test_enabled_for_warp_size_vIXT1_EEEvE4typeEPT_S4_i: ; @_Z24warp_reduce_valid_kernelIiLj30ELj3EENSt9enable_ifIXsr10test_utilsE35device_test_enabled_for_warp_size_vIXT1_EEEvE4typeEPT_S4_i
; %bb.0:
	s_clause 0x2
	s_load_b32 s2, s[0:1], 0x24
	s_load_b128 s[4:7], s[0:1], 0x0
	s_load_b32 s1, s[0:1], 0x10
	v_mul_u32_u24_e32 v5, 0x5556, v0
	s_waitcnt lgkmcnt(0)
	s_and_b32 s2, s2, 0xffff
	s_delay_alu instid0(SALU_CYCLE_1) | instskip(SKIP_1) | instid1(VALU_DEP_1)
	v_mad_u64_u32 v[1:2], null, s15, s2, v[0:1]
	v_mov_b32_e32 v2, 0
	v_lshlrev_b64 v[2:3], 2, v[1:2]
	s_delay_alu instid0(VALU_DEP_1) | instskip(NEXT) | instid1(VALU_DEP_2)
	v_add_co_u32 v2, vcc_lo, s4, v2
	v_add_co_ci_u32_e32 v3, vcc_lo, s5, v3, vcc_lo
	global_load_b32 v2, v[2:3], off
	v_mbcnt_lo_u32_b32 v3, -1, 0
	s_delay_alu instid0(VALU_DEP_1) | instskip(NEXT) | instid1(VALU_DEP_1)
	v_mul_hi_u32 v4, 0x55555556, v3
	v_mul_u32_u24_e32 v4, 3, v4
	s_delay_alu instid0(VALU_DEP_1) | instskip(SKIP_1) | instid1(VALU_DEP_2)
	v_sub_nc_u32_e32 v6, v3, v4
	v_lshrrev_b32_e32 v3, 16, v5
	v_lshlrev_b32_e32 v5, 2, v6
	v_add_nc_u32_e32 v4, 2, v6
	v_cmp_eq_u32_e32 vcc_lo, 0, v6
	s_delay_alu instid0(VALU_DEP_2) | instskip(NEXT) | instid1(VALU_DEP_4)
	v_cmp_gt_u32_e64 s0, s1, v4
	v_mad_u32_u24 v4, v3, 12, v5
	v_mul_u32_u24_e32 v5, 12, v3
	s_delay_alu instid0(VALU_DEP_3)
	s_and_b32 s0, vcc_lo, s0
	s_waitcnt vmcnt(0)
	ds_store_b32 v4, v2
	; wave barrier
	s_and_saveexec_b32 s2, s0
	s_cbranch_execz .LBB82_2
; %bb.1:
	ds_load_b32 v2, v4
	ds_load_b32 v7, v5 offset:8
	s_waitcnt lgkmcnt(0)
	v_add_nc_u32_e32 v2, v7, v2
.LBB82_2:
	s_or_b32 exec_lo, exec_lo, s2
	; wave barrier
	s_and_saveexec_b32 s2, s0
	s_cbranch_execz .LBB82_4
; %bb.3:
	ds_store_b32 v4, v2
.LBB82_4:
	s_or_b32 exec_lo, exec_lo, s2
	v_add_nc_u32_e32 v6, 1, v6
	; wave barrier
	s_delay_alu instid0(VALU_DEP_1) | instskip(NEXT) | instid1(VALU_DEP_1)
	v_cmp_gt_u32_e64 s0, s1, v6
	s_and_b32 s0, vcc_lo, s0
	s_delay_alu instid0(SALU_CYCLE_1)
	s_and_saveexec_b32 s1, s0
	s_cbranch_execz .LBB82_6
; %bb.5:
	ds_load_b32 v2, v4
	ds_load_b32 v5, v5 offset:4
	s_waitcnt lgkmcnt(0)
	v_add_nc_u32_e32 v2, v5, v2
.LBB82_6:
	s_or_b32 exec_lo, exec_lo, s1
	; wave barrier
	s_and_saveexec_b32 s1, s0
	s_cbranch_execz .LBB82_8
; %bb.7:
	ds_store_b32 v4, v2
.LBB82_8:
	s_or_b32 exec_lo, exec_lo, s1
	v_mul_lo_u16 v3, v3, 3
	; wave barrier
	s_mov_b32 s0, exec_lo
	s_delay_alu instid0(VALU_DEP_1) | instskip(NEXT) | instid1(VALU_DEP_1)
	v_sub_nc_u16 v0, v0, v3
	v_cmpx_eq_u16_e32 0, v0
	s_cbranch_execz .LBB82_10
; %bb.9:
	v_mul_hi_u32 v0, 0xaaaaaaab, v1
	v_mov_b32_e32 v1, 0
	s_delay_alu instid0(VALU_DEP_2) | instskip(NEXT) | instid1(VALU_DEP_1)
	v_lshrrev_b32_e32 v0, 1, v0
	v_lshlrev_b64 v[0:1], 2, v[0:1]
	s_delay_alu instid0(VALU_DEP_1) | instskip(NEXT) | instid1(VALU_DEP_2)
	v_add_co_u32 v0, vcc_lo, s6, v0
	v_add_co_ci_u32_e32 v1, vcc_lo, s7, v1, vcc_lo
	global_store_b32 v[0:1], v2, off
.LBB82_10:
	s_nop 0
	s_sendmsg sendmsg(MSG_DEALLOC_VGPRS)
	s_endpgm
	.section	.rodata,"a",@progbits
	.p2align	6, 0x0
	.amdhsa_kernel _Z24warp_reduce_valid_kernelIiLj30ELj3EENSt9enable_ifIXsr10test_utilsE35device_test_enabled_for_warp_size_vIXT1_EEEvE4typeEPT_S4_i
		.amdhsa_group_segment_fixed_size 120
		.amdhsa_private_segment_fixed_size 0
		.amdhsa_kernarg_size 280
		.amdhsa_user_sgpr_count 15
		.amdhsa_user_sgpr_dispatch_ptr 0
		.amdhsa_user_sgpr_queue_ptr 0
		.amdhsa_user_sgpr_kernarg_segment_ptr 1
		.amdhsa_user_sgpr_dispatch_id 0
		.amdhsa_user_sgpr_private_segment_size 0
		.amdhsa_wavefront_size32 1
		.amdhsa_uses_dynamic_stack 0
		.amdhsa_enable_private_segment 0
		.amdhsa_system_sgpr_workgroup_id_x 1
		.amdhsa_system_sgpr_workgroup_id_y 0
		.amdhsa_system_sgpr_workgroup_id_z 0
		.amdhsa_system_sgpr_workgroup_info 0
		.amdhsa_system_vgpr_workitem_id 0
		.amdhsa_next_free_vgpr 8
		.amdhsa_next_free_sgpr 16
		.amdhsa_reserve_vcc 1
		.amdhsa_float_round_mode_32 0
		.amdhsa_float_round_mode_16_64 0
		.amdhsa_float_denorm_mode_32 3
		.amdhsa_float_denorm_mode_16_64 3
		.amdhsa_dx10_clamp 1
		.amdhsa_ieee_mode 1
		.amdhsa_fp16_overflow 0
		.amdhsa_workgroup_processor_mode 1
		.amdhsa_memory_ordered 1
		.amdhsa_forward_progress 0
		.amdhsa_shared_vgpr_count 0
		.amdhsa_exception_fp_ieee_invalid_op 0
		.amdhsa_exception_fp_denorm_src 0
		.amdhsa_exception_fp_ieee_div_zero 0
		.amdhsa_exception_fp_ieee_overflow 0
		.amdhsa_exception_fp_ieee_underflow 0
		.amdhsa_exception_fp_ieee_inexact 0
		.amdhsa_exception_int_div_zero 0
	.end_amdhsa_kernel
	.section	.text._Z24warp_reduce_valid_kernelIiLj30ELj3EENSt9enable_ifIXsr10test_utilsE35device_test_enabled_for_warp_size_vIXT1_EEEvE4typeEPT_S4_i,"axG",@progbits,_Z24warp_reduce_valid_kernelIiLj30ELj3EENSt9enable_ifIXsr10test_utilsE35device_test_enabled_for_warp_size_vIXT1_EEEvE4typeEPT_S4_i,comdat
.Lfunc_end82:
	.size	_Z24warp_reduce_valid_kernelIiLj30ELj3EENSt9enable_ifIXsr10test_utilsE35device_test_enabled_for_warp_size_vIXT1_EEEvE4typeEPT_S4_i, .Lfunc_end82-_Z24warp_reduce_valid_kernelIiLj30ELj3EENSt9enable_ifIXsr10test_utilsE35device_test_enabled_for_warp_size_vIXT1_EEEvE4typeEPT_S4_i
                                        ; -- End function
	.section	.AMDGPU.csdata,"",@progbits
; Kernel info:
; codeLenInByte = 428
; NumSgprs: 18
; NumVgprs: 8
; ScratchSize: 0
; MemoryBound: 0
; FloatMode: 240
; IeeeMode: 1
; LDSByteSize: 120 bytes/workgroup (compile time only)
; SGPRBlocks: 2
; VGPRBlocks: 0
; NumSGPRsForWavesPerEU: 18
; NumVGPRsForWavesPerEU: 8
; Occupancy: 16
; WaveLimiterHint : 0
; COMPUTE_PGM_RSRC2:SCRATCH_EN: 0
; COMPUTE_PGM_RSRC2:USER_SGPR: 15
; COMPUTE_PGM_RSRC2:TRAP_HANDLER: 0
; COMPUTE_PGM_RSRC2:TGID_X_EN: 1
; COMPUTE_PGM_RSRC2:TGID_Y_EN: 0
; COMPUTE_PGM_RSRC2:TGID_Z_EN: 0
; COMPUTE_PGM_RSRC2:TIDIG_COMP_CNT: 0
	.section	.text._Z24warp_reduce_valid_kernelIiLj63ELj3EENSt9enable_ifIXsr10test_utilsE35device_test_enabled_for_warp_size_vIXT1_EEEvE4typeEPT_S4_i,"axG",@progbits,_Z24warp_reduce_valid_kernelIiLj63ELj3EENSt9enable_ifIXsr10test_utilsE35device_test_enabled_for_warp_size_vIXT1_EEEvE4typeEPT_S4_i,comdat
	.protected	_Z24warp_reduce_valid_kernelIiLj63ELj3EENSt9enable_ifIXsr10test_utilsE35device_test_enabled_for_warp_size_vIXT1_EEEvE4typeEPT_S4_i ; -- Begin function _Z24warp_reduce_valid_kernelIiLj63ELj3EENSt9enable_ifIXsr10test_utilsE35device_test_enabled_for_warp_size_vIXT1_EEEvE4typeEPT_S4_i
	.globl	_Z24warp_reduce_valid_kernelIiLj63ELj3EENSt9enable_ifIXsr10test_utilsE35device_test_enabled_for_warp_size_vIXT1_EEEvE4typeEPT_S4_i
	.p2align	8
	.type	_Z24warp_reduce_valid_kernelIiLj63ELj3EENSt9enable_ifIXsr10test_utilsE35device_test_enabled_for_warp_size_vIXT1_EEEvE4typeEPT_S4_i,@function
_Z24warp_reduce_valid_kernelIiLj63ELj3EENSt9enable_ifIXsr10test_utilsE35device_test_enabled_for_warp_size_vIXT1_EEEvE4typeEPT_S4_i: ; @_Z24warp_reduce_valid_kernelIiLj63ELj3EENSt9enable_ifIXsr10test_utilsE35device_test_enabled_for_warp_size_vIXT1_EEEvE4typeEPT_S4_i
; %bb.0:
	s_clause 0x2
	s_load_b32 s2, s[0:1], 0x24
	s_load_b128 s[4:7], s[0:1], 0x0
	s_load_b32 s1, s[0:1], 0x10
	v_mul_u32_u24_e32 v5, 0x5556, v0
	s_waitcnt lgkmcnt(0)
	s_and_b32 s2, s2, 0xffff
	s_delay_alu instid0(SALU_CYCLE_1) | instskip(SKIP_1) | instid1(VALU_DEP_1)
	v_mad_u64_u32 v[1:2], null, s15, s2, v[0:1]
	v_mov_b32_e32 v2, 0
	v_lshlrev_b64 v[2:3], 2, v[1:2]
	s_delay_alu instid0(VALU_DEP_1) | instskip(NEXT) | instid1(VALU_DEP_2)
	v_add_co_u32 v2, vcc_lo, s4, v2
	v_add_co_ci_u32_e32 v3, vcc_lo, s5, v3, vcc_lo
	global_load_b32 v2, v[2:3], off
	v_mbcnt_lo_u32_b32 v3, -1, 0
	s_delay_alu instid0(VALU_DEP_1) | instskip(NEXT) | instid1(VALU_DEP_1)
	v_mul_hi_u32 v4, 0x55555556, v3
	v_mul_u32_u24_e32 v4, 3, v4
	s_delay_alu instid0(VALU_DEP_1) | instskip(SKIP_1) | instid1(VALU_DEP_2)
	v_sub_nc_u32_e32 v6, v3, v4
	v_lshrrev_b32_e32 v3, 16, v5
	v_lshlrev_b32_e32 v5, 2, v6
	v_add_nc_u32_e32 v4, 2, v6
	v_cmp_eq_u32_e32 vcc_lo, 0, v6
	s_delay_alu instid0(VALU_DEP_2) | instskip(NEXT) | instid1(VALU_DEP_4)
	v_cmp_gt_u32_e64 s0, s1, v4
	v_mad_u32_u24 v4, v3, 12, v5
	v_mul_u32_u24_e32 v5, 12, v3
	s_delay_alu instid0(VALU_DEP_3)
	s_and_b32 s0, vcc_lo, s0
	s_waitcnt vmcnt(0)
	ds_store_b32 v4, v2
	; wave barrier
	s_and_saveexec_b32 s2, s0
	s_cbranch_execz .LBB83_2
; %bb.1:
	ds_load_b32 v2, v4
	ds_load_b32 v7, v5 offset:8
	s_waitcnt lgkmcnt(0)
	v_add_nc_u32_e32 v2, v7, v2
.LBB83_2:
	s_or_b32 exec_lo, exec_lo, s2
	; wave barrier
	s_and_saveexec_b32 s2, s0
	s_cbranch_execz .LBB83_4
; %bb.3:
	ds_store_b32 v4, v2
.LBB83_4:
	s_or_b32 exec_lo, exec_lo, s2
	v_add_nc_u32_e32 v6, 1, v6
	; wave barrier
	s_delay_alu instid0(VALU_DEP_1) | instskip(NEXT) | instid1(VALU_DEP_1)
	v_cmp_gt_u32_e64 s0, s1, v6
	s_and_b32 s0, vcc_lo, s0
	s_delay_alu instid0(SALU_CYCLE_1)
	s_and_saveexec_b32 s1, s0
	s_cbranch_execz .LBB83_6
; %bb.5:
	ds_load_b32 v2, v4
	ds_load_b32 v5, v5 offset:4
	s_waitcnt lgkmcnt(0)
	v_add_nc_u32_e32 v2, v5, v2
.LBB83_6:
	s_or_b32 exec_lo, exec_lo, s1
	; wave barrier
	s_and_saveexec_b32 s1, s0
	s_cbranch_execz .LBB83_8
; %bb.7:
	ds_store_b32 v4, v2
.LBB83_8:
	s_or_b32 exec_lo, exec_lo, s1
	v_mul_lo_u16 v3, v3, 3
	; wave barrier
	s_mov_b32 s0, exec_lo
	s_delay_alu instid0(VALU_DEP_1) | instskip(NEXT) | instid1(VALU_DEP_1)
	v_sub_nc_u16 v0, v0, v3
	v_cmpx_eq_u16_e32 0, v0
	s_cbranch_execz .LBB83_10
; %bb.9:
	v_mul_hi_u32 v0, 0xaaaaaaab, v1
	v_mov_b32_e32 v1, 0
	s_delay_alu instid0(VALU_DEP_2) | instskip(NEXT) | instid1(VALU_DEP_1)
	v_lshrrev_b32_e32 v0, 1, v0
	v_lshlrev_b64 v[0:1], 2, v[0:1]
	s_delay_alu instid0(VALU_DEP_1) | instskip(NEXT) | instid1(VALU_DEP_2)
	v_add_co_u32 v0, vcc_lo, s6, v0
	v_add_co_ci_u32_e32 v1, vcc_lo, s7, v1, vcc_lo
	global_store_b32 v[0:1], v2, off
.LBB83_10:
	s_nop 0
	s_sendmsg sendmsg(MSG_DEALLOC_VGPRS)
	s_endpgm
	.section	.rodata,"a",@progbits
	.p2align	6, 0x0
	.amdhsa_kernel _Z24warp_reduce_valid_kernelIiLj63ELj3EENSt9enable_ifIXsr10test_utilsE35device_test_enabled_for_warp_size_vIXT1_EEEvE4typeEPT_S4_i
		.amdhsa_group_segment_fixed_size 252
		.amdhsa_private_segment_fixed_size 0
		.amdhsa_kernarg_size 280
		.amdhsa_user_sgpr_count 15
		.amdhsa_user_sgpr_dispatch_ptr 0
		.amdhsa_user_sgpr_queue_ptr 0
		.amdhsa_user_sgpr_kernarg_segment_ptr 1
		.amdhsa_user_sgpr_dispatch_id 0
		.amdhsa_user_sgpr_private_segment_size 0
		.amdhsa_wavefront_size32 1
		.amdhsa_uses_dynamic_stack 0
		.amdhsa_enable_private_segment 0
		.amdhsa_system_sgpr_workgroup_id_x 1
		.amdhsa_system_sgpr_workgroup_id_y 0
		.amdhsa_system_sgpr_workgroup_id_z 0
		.amdhsa_system_sgpr_workgroup_info 0
		.amdhsa_system_vgpr_workitem_id 0
		.amdhsa_next_free_vgpr 8
		.amdhsa_next_free_sgpr 16
		.amdhsa_reserve_vcc 1
		.amdhsa_float_round_mode_32 0
		.amdhsa_float_round_mode_16_64 0
		.amdhsa_float_denorm_mode_32 3
		.amdhsa_float_denorm_mode_16_64 3
		.amdhsa_dx10_clamp 1
		.amdhsa_ieee_mode 1
		.amdhsa_fp16_overflow 0
		.amdhsa_workgroup_processor_mode 1
		.amdhsa_memory_ordered 1
		.amdhsa_forward_progress 0
		.amdhsa_shared_vgpr_count 0
		.amdhsa_exception_fp_ieee_invalid_op 0
		.amdhsa_exception_fp_denorm_src 0
		.amdhsa_exception_fp_ieee_div_zero 0
		.amdhsa_exception_fp_ieee_overflow 0
		.amdhsa_exception_fp_ieee_underflow 0
		.amdhsa_exception_fp_ieee_inexact 0
		.amdhsa_exception_int_div_zero 0
	.end_amdhsa_kernel
	.section	.text._Z24warp_reduce_valid_kernelIiLj63ELj3EENSt9enable_ifIXsr10test_utilsE35device_test_enabled_for_warp_size_vIXT1_EEEvE4typeEPT_S4_i,"axG",@progbits,_Z24warp_reduce_valid_kernelIiLj63ELj3EENSt9enable_ifIXsr10test_utilsE35device_test_enabled_for_warp_size_vIXT1_EEEvE4typeEPT_S4_i,comdat
.Lfunc_end83:
	.size	_Z24warp_reduce_valid_kernelIiLj63ELj3EENSt9enable_ifIXsr10test_utilsE35device_test_enabled_for_warp_size_vIXT1_EEEvE4typeEPT_S4_i, .Lfunc_end83-_Z24warp_reduce_valid_kernelIiLj63ELj3EENSt9enable_ifIXsr10test_utilsE35device_test_enabled_for_warp_size_vIXT1_EEEvE4typeEPT_S4_i
                                        ; -- End function
	.section	.AMDGPU.csdata,"",@progbits
; Kernel info:
; codeLenInByte = 428
; NumSgprs: 18
; NumVgprs: 8
; ScratchSize: 0
; MemoryBound: 0
; FloatMode: 240
; IeeeMode: 1
; LDSByteSize: 252 bytes/workgroup (compile time only)
; SGPRBlocks: 2
; VGPRBlocks: 0
; NumSGPRsForWavesPerEU: 18
; NumVGPRsForWavesPerEU: 8
; Occupancy: 16
; WaveLimiterHint : 0
; COMPUTE_PGM_RSRC2:SCRATCH_EN: 0
; COMPUTE_PGM_RSRC2:USER_SGPR: 15
; COMPUTE_PGM_RSRC2:TRAP_HANDLER: 0
; COMPUTE_PGM_RSRC2:TGID_X_EN: 1
; COMPUTE_PGM_RSRC2:TGID_Y_EN: 0
; COMPUTE_PGM_RSRC2:TGID_Z_EN: 0
; COMPUTE_PGM_RSRC2:TIDIG_COMP_CNT: 0
	.section	.text._Z24warp_reduce_valid_kernelI12hip_bfloat16Lj256ELj64EENSt9enable_ifIXntsr10test_utilsE35device_test_enabled_for_warp_size_vIXT1_EEEvE4typeEPT_S5_i,"axG",@progbits,_Z24warp_reduce_valid_kernelI12hip_bfloat16Lj256ELj64EENSt9enable_ifIXntsr10test_utilsE35device_test_enabled_for_warp_size_vIXT1_EEEvE4typeEPT_S5_i,comdat
	.protected	_Z24warp_reduce_valid_kernelI12hip_bfloat16Lj256ELj64EENSt9enable_ifIXntsr10test_utilsE35device_test_enabled_for_warp_size_vIXT1_EEEvE4typeEPT_S5_i ; -- Begin function _Z24warp_reduce_valid_kernelI12hip_bfloat16Lj256ELj64EENSt9enable_ifIXntsr10test_utilsE35device_test_enabled_for_warp_size_vIXT1_EEEvE4typeEPT_S5_i
	.globl	_Z24warp_reduce_valid_kernelI12hip_bfloat16Lj256ELj64EENSt9enable_ifIXntsr10test_utilsE35device_test_enabled_for_warp_size_vIXT1_EEEvE4typeEPT_S5_i
	.p2align	8
	.type	_Z24warp_reduce_valid_kernelI12hip_bfloat16Lj256ELj64EENSt9enable_ifIXntsr10test_utilsE35device_test_enabled_for_warp_size_vIXT1_EEEvE4typeEPT_S5_i,@function
_Z24warp_reduce_valid_kernelI12hip_bfloat16Lj256ELj64EENSt9enable_ifIXntsr10test_utilsE35device_test_enabled_for_warp_size_vIXT1_EEEvE4typeEPT_S5_i: ; @_Z24warp_reduce_valid_kernelI12hip_bfloat16Lj256ELj64EENSt9enable_ifIXntsr10test_utilsE35device_test_enabled_for_warp_size_vIXT1_EEEvE4typeEPT_S5_i
; %bb.0:
	s_endpgm
	.section	.rodata,"a",@progbits
	.p2align	6, 0x0
	.amdhsa_kernel _Z24warp_reduce_valid_kernelI12hip_bfloat16Lj256ELj64EENSt9enable_ifIXntsr10test_utilsE35device_test_enabled_for_warp_size_vIXT1_EEEvE4typeEPT_S5_i
		.amdhsa_group_segment_fixed_size 0
		.amdhsa_private_segment_fixed_size 0
		.amdhsa_kernarg_size 20
		.amdhsa_user_sgpr_count 15
		.amdhsa_user_sgpr_dispatch_ptr 0
		.amdhsa_user_sgpr_queue_ptr 0
		.amdhsa_user_sgpr_kernarg_segment_ptr 1
		.amdhsa_user_sgpr_dispatch_id 0
		.amdhsa_user_sgpr_private_segment_size 0
		.amdhsa_wavefront_size32 1
		.amdhsa_uses_dynamic_stack 0
		.amdhsa_enable_private_segment 0
		.amdhsa_system_sgpr_workgroup_id_x 1
		.amdhsa_system_sgpr_workgroup_id_y 0
		.amdhsa_system_sgpr_workgroup_id_z 0
		.amdhsa_system_sgpr_workgroup_info 0
		.amdhsa_system_vgpr_workitem_id 0
		.amdhsa_next_free_vgpr 1
		.amdhsa_next_free_sgpr 1
		.amdhsa_reserve_vcc 0
		.amdhsa_float_round_mode_32 0
		.amdhsa_float_round_mode_16_64 0
		.amdhsa_float_denorm_mode_32 3
		.amdhsa_float_denorm_mode_16_64 3
		.amdhsa_dx10_clamp 1
		.amdhsa_ieee_mode 1
		.amdhsa_fp16_overflow 0
		.amdhsa_workgroup_processor_mode 1
		.amdhsa_memory_ordered 1
		.amdhsa_forward_progress 0
		.amdhsa_shared_vgpr_count 0
		.amdhsa_exception_fp_ieee_invalid_op 0
		.amdhsa_exception_fp_denorm_src 0
		.amdhsa_exception_fp_ieee_div_zero 0
		.amdhsa_exception_fp_ieee_overflow 0
		.amdhsa_exception_fp_ieee_underflow 0
		.amdhsa_exception_fp_ieee_inexact 0
		.amdhsa_exception_int_div_zero 0
	.end_amdhsa_kernel
	.section	.text._Z24warp_reduce_valid_kernelI12hip_bfloat16Lj256ELj64EENSt9enable_ifIXntsr10test_utilsE35device_test_enabled_for_warp_size_vIXT1_EEEvE4typeEPT_S5_i,"axG",@progbits,_Z24warp_reduce_valid_kernelI12hip_bfloat16Lj256ELj64EENSt9enable_ifIXntsr10test_utilsE35device_test_enabled_for_warp_size_vIXT1_EEEvE4typeEPT_S5_i,comdat
.Lfunc_end84:
	.size	_Z24warp_reduce_valid_kernelI12hip_bfloat16Lj256ELj64EENSt9enable_ifIXntsr10test_utilsE35device_test_enabled_for_warp_size_vIXT1_EEEvE4typeEPT_S5_i, .Lfunc_end84-_Z24warp_reduce_valid_kernelI12hip_bfloat16Lj256ELj64EENSt9enable_ifIXntsr10test_utilsE35device_test_enabled_for_warp_size_vIXT1_EEEvE4typeEPT_S5_i
                                        ; -- End function
	.section	.AMDGPU.csdata,"",@progbits
; Kernel info:
; codeLenInByte = 4
; NumSgprs: 0
; NumVgprs: 0
; ScratchSize: 0
; MemoryBound: 0
; FloatMode: 240
; IeeeMode: 1
; LDSByteSize: 0 bytes/workgroup (compile time only)
; SGPRBlocks: 0
; VGPRBlocks: 0
; NumSGPRsForWavesPerEU: 1
; NumVGPRsForWavesPerEU: 1
; Occupancy: 16
; WaveLimiterHint : 0
; COMPUTE_PGM_RSRC2:SCRATCH_EN: 0
; COMPUTE_PGM_RSRC2:USER_SGPR: 15
; COMPUTE_PGM_RSRC2:TRAP_HANDLER: 0
; COMPUTE_PGM_RSRC2:TGID_X_EN: 1
; COMPUTE_PGM_RSRC2:TGID_Y_EN: 0
; COMPUTE_PGM_RSRC2:TGID_Z_EN: 0
; COMPUTE_PGM_RSRC2:TIDIG_COMP_CNT: 0
	.section	.text._Z24warp_reduce_valid_kernelI12hip_bfloat16Lj128ELj32EENSt9enable_ifIXsr10test_utilsE35device_test_enabled_for_warp_size_vIXT1_EEEvE4typeEPT_S5_i,"axG",@progbits,_Z24warp_reduce_valid_kernelI12hip_bfloat16Lj128ELj32EENSt9enable_ifIXsr10test_utilsE35device_test_enabled_for_warp_size_vIXT1_EEEvE4typeEPT_S5_i,comdat
	.protected	_Z24warp_reduce_valid_kernelI12hip_bfloat16Lj128ELj32EENSt9enable_ifIXsr10test_utilsE35device_test_enabled_for_warp_size_vIXT1_EEEvE4typeEPT_S5_i ; -- Begin function _Z24warp_reduce_valid_kernelI12hip_bfloat16Lj128ELj32EENSt9enable_ifIXsr10test_utilsE35device_test_enabled_for_warp_size_vIXT1_EEEvE4typeEPT_S5_i
	.globl	_Z24warp_reduce_valid_kernelI12hip_bfloat16Lj128ELj32EENSt9enable_ifIXsr10test_utilsE35device_test_enabled_for_warp_size_vIXT1_EEEvE4typeEPT_S5_i
	.p2align	8
	.type	_Z24warp_reduce_valid_kernelI12hip_bfloat16Lj128ELj32EENSt9enable_ifIXsr10test_utilsE35device_test_enabled_for_warp_size_vIXT1_EEEvE4typeEPT_S5_i,@function
_Z24warp_reduce_valid_kernelI12hip_bfloat16Lj128ELj32EENSt9enable_ifIXsr10test_utilsE35device_test_enabled_for_warp_size_vIXT1_EEEvE4typeEPT_S5_i: ; @_Z24warp_reduce_valid_kernelI12hip_bfloat16Lj128ELj32EENSt9enable_ifIXsr10test_utilsE35device_test_enabled_for_warp_size_vIXT1_EEEvE4typeEPT_S5_i
; %bb.0:
	s_clause 0x2
	s_load_b32 s2, s[0:1], 0x24
	s_load_b128 s[4:7], s[0:1], 0x0
	s_load_b32 s0, s[0:1], 0x10
	s_mov_b32 s1, exec_lo
	s_waitcnt lgkmcnt(0)
	s_and_b32 s2, s2, 0xffff
	s_delay_alu instid0(SALU_CYCLE_1) | instskip(SKIP_1) | instid1(VALU_DEP_1)
	v_mad_u64_u32 v[1:2], null, s15, s2, v[0:1]
	v_mov_b32_e32 v2, 0
	v_lshlrev_b64 v[2:3], 1, v[1:2]
	s_delay_alu instid0(VALU_DEP_1) | instskip(NEXT) | instid1(VALU_DEP_2)
	v_add_co_u32 v2, vcc_lo, s4, v2
	v_add_co_ci_u32_e32 v3, vcc_lo, s5, v3, vcc_lo
	global_load_u16 v3, v[2:3], off
	v_mbcnt_lo_u32_b32 v2, -1, 0
	s_delay_alu instid0(VALU_DEP_1) | instskip(SKIP_2) | instid1(VALU_DEP_1)
	v_cmp_ne_u32_e32 vcc_lo, 31, v2
	v_add_nc_u32_e32 v6, 1, v2
	v_add_co_ci_u32_e32 v5, vcc_lo, 0, v2, vcc_lo
	v_lshlrev_b32_e32 v5, 2, v5
	s_waitcnt vmcnt(0)
	v_and_b32_e32 v4, 0xffff, v3
	ds_bpermute_b32 v5, v5, v4
	v_cmpx_gt_u32_e64 s0, v6
	s_cbranch_execz .LBB85_6
; %bb.1:
	v_lshlrev_b32_e32 v3, 16, v4
	s_waitcnt lgkmcnt(0)
	v_lshlrev_b32_e32 v4, 16, v5
	s_delay_alu instid0(VALU_DEP_1) | instskip(NEXT) | instid1(VALU_DEP_1)
	v_add_f32_e32 v3, v3, v4
	v_and_b32_e32 v4, 0x7f800000, v3
	s_delay_alu instid0(VALU_DEP_1) | instskip(SKIP_1) | instid1(SALU_CYCLE_1)
	v_cmp_ne_u32_e32 vcc_lo, 0x7f800000, v4
                                        ; implicit-def: $vgpr4
	s_and_saveexec_b32 s2, vcc_lo
	s_xor_b32 s2, exec_lo, s2
; %bb.2:
	v_bfe_u32 v4, v3, 16, 1
	s_delay_alu instid0(VALU_DEP_1)
	v_add3_u32 v4, v3, v4, 0x7fff
                                        ; implicit-def: $vgpr3
; %bb.3:
	s_and_not1_saveexec_b32 s2, s2
; %bb.4:
	v_and_b32_e32 v4, 0xffff, v3
	v_or_b32_e32 v5, 0x10000, v3
	s_delay_alu instid0(VALU_DEP_2) | instskip(NEXT) | instid1(VALU_DEP_2)
	v_cmp_eq_u32_e32 vcc_lo, 0, v4
	v_cndmask_b32_e32 v4, v5, v3, vcc_lo
; %bb.5:
	s_or_b32 exec_lo, exec_lo, s2
	s_delay_alu instid0(VALU_DEP_1) | instskip(NEXT) | instid1(VALU_DEP_1)
	v_lshrrev_b32_e32 v4, 16, v4
	v_mov_b32_e32 v3, v4
.LBB85_6:
	s_or_b32 exec_lo, exec_lo, s1
	v_cmp_gt_u32_e32 vcc_lo, 30, v2
	v_add_nc_u32_e32 v6, 2, v2
	s_mov_b32 s1, exec_lo
	s_waitcnt lgkmcnt(0)
	v_cndmask_b32_e64 v5, 0, 1, vcc_lo
	s_delay_alu instid0(VALU_DEP_1) | instskip(NEXT) | instid1(VALU_DEP_1)
	v_lshlrev_b32_e32 v5, 1, v5
	v_add_lshl_u32 v5, v5, v2, 2
	ds_bpermute_b32 v5, v5, v4
	v_cmpx_gt_u32_e64 s0, v6
	s_cbranch_execz .LBB85_12
; %bb.7:
	v_lshlrev_b32_e32 v3, 16, v4
	s_waitcnt lgkmcnt(0)
	v_lshlrev_b32_e32 v4, 16, v5
	s_delay_alu instid0(VALU_DEP_1) | instskip(NEXT) | instid1(VALU_DEP_1)
	v_add_f32_e32 v3, v3, v4
	v_and_b32_e32 v4, 0x7f800000, v3
	s_delay_alu instid0(VALU_DEP_1) | instskip(SKIP_1) | instid1(SALU_CYCLE_1)
	v_cmp_ne_u32_e32 vcc_lo, 0x7f800000, v4
                                        ; implicit-def: $vgpr4
	s_and_saveexec_b32 s2, vcc_lo
	s_xor_b32 s2, exec_lo, s2
; %bb.8:
	v_bfe_u32 v4, v3, 16, 1
	s_delay_alu instid0(VALU_DEP_1)
	v_add3_u32 v4, v3, v4, 0x7fff
                                        ; implicit-def: $vgpr3
; %bb.9:
	s_and_not1_saveexec_b32 s2, s2
; %bb.10:
	v_and_b32_e32 v4, 0xffff, v3
	v_or_b32_e32 v5, 0x10000, v3
	s_delay_alu instid0(VALU_DEP_2) | instskip(NEXT) | instid1(VALU_DEP_2)
	v_cmp_eq_u32_e32 vcc_lo, 0, v4
	v_cndmask_b32_e32 v4, v5, v3, vcc_lo
; %bb.11:
	s_or_b32 exec_lo, exec_lo, s2
	s_delay_alu instid0(VALU_DEP_1) | instskip(NEXT) | instid1(VALU_DEP_1)
	v_lshrrev_b32_e32 v4, 16, v4
	v_mov_b32_e32 v3, v4
.LBB85_12:
	s_or_b32 exec_lo, exec_lo, s1
	v_cmp_gt_u32_e32 vcc_lo, 28, v2
	v_add_nc_u32_e32 v6, 4, v2
	s_mov_b32 s1, exec_lo
	s_waitcnt lgkmcnt(0)
	v_cndmask_b32_e64 v5, 0, 1, vcc_lo
	s_delay_alu instid0(VALU_DEP_1) | instskip(NEXT) | instid1(VALU_DEP_1)
	v_lshlrev_b32_e32 v5, 2, v5
	v_add_lshl_u32 v5, v5, v2, 2
	ds_bpermute_b32 v5, v5, v4
	v_cmpx_gt_u32_e64 s0, v6
	s_cbranch_execz .LBB85_18
; %bb.13:
	v_lshlrev_b32_e32 v3, 16, v4
	s_waitcnt lgkmcnt(0)
	v_lshlrev_b32_e32 v4, 16, v5
	s_delay_alu instid0(VALU_DEP_1) | instskip(NEXT) | instid1(VALU_DEP_1)
	v_add_f32_e32 v3, v3, v4
	v_and_b32_e32 v4, 0x7f800000, v3
	s_delay_alu instid0(VALU_DEP_1) | instskip(SKIP_1) | instid1(SALU_CYCLE_1)
	v_cmp_ne_u32_e32 vcc_lo, 0x7f800000, v4
                                        ; implicit-def: $vgpr4
	s_and_saveexec_b32 s2, vcc_lo
	s_xor_b32 s2, exec_lo, s2
; %bb.14:
	v_bfe_u32 v4, v3, 16, 1
	s_delay_alu instid0(VALU_DEP_1)
	v_add3_u32 v4, v3, v4, 0x7fff
                                        ; implicit-def: $vgpr3
; %bb.15:
	s_and_not1_saveexec_b32 s2, s2
; %bb.16:
	v_and_b32_e32 v4, 0xffff, v3
	v_or_b32_e32 v5, 0x10000, v3
	s_delay_alu instid0(VALU_DEP_2) | instskip(NEXT) | instid1(VALU_DEP_2)
	v_cmp_eq_u32_e32 vcc_lo, 0, v4
	v_cndmask_b32_e32 v4, v5, v3, vcc_lo
; %bb.17:
	s_or_b32 exec_lo, exec_lo, s2
	s_delay_alu instid0(VALU_DEP_1) | instskip(NEXT) | instid1(VALU_DEP_1)
	v_lshrrev_b32_e32 v4, 16, v4
	v_mov_b32_e32 v3, v4
.LBB85_18:
	s_or_b32 exec_lo, exec_lo, s1
	v_cmp_gt_u32_e32 vcc_lo, 24, v2
	v_add_nc_u32_e32 v6, 8, v2
	s_mov_b32 s1, exec_lo
	s_waitcnt lgkmcnt(0)
	v_cndmask_b32_e64 v5, 0, 1, vcc_lo
	s_delay_alu instid0(VALU_DEP_1) | instskip(NEXT) | instid1(VALU_DEP_1)
	v_lshlrev_b32_e32 v5, 3, v5
	v_add_lshl_u32 v5, v5, v2, 2
	ds_bpermute_b32 v5, v5, v4
	v_cmpx_gt_u32_e64 s0, v6
	s_cbranch_execz .LBB85_24
; %bb.19:
	v_lshlrev_b32_e32 v3, 16, v4
	s_waitcnt lgkmcnt(0)
	v_lshlrev_b32_e32 v4, 16, v5
	s_delay_alu instid0(VALU_DEP_1) | instskip(NEXT) | instid1(VALU_DEP_1)
	v_add_f32_e32 v3, v3, v4
	v_and_b32_e32 v4, 0x7f800000, v3
	s_delay_alu instid0(VALU_DEP_1) | instskip(SKIP_1) | instid1(SALU_CYCLE_1)
	v_cmp_ne_u32_e32 vcc_lo, 0x7f800000, v4
                                        ; implicit-def: $vgpr4
	s_and_saveexec_b32 s2, vcc_lo
	s_xor_b32 s2, exec_lo, s2
; %bb.20:
	v_bfe_u32 v4, v3, 16, 1
	s_delay_alu instid0(VALU_DEP_1)
	v_add3_u32 v4, v3, v4, 0x7fff
                                        ; implicit-def: $vgpr3
; %bb.21:
	s_and_not1_saveexec_b32 s2, s2
; %bb.22:
	v_and_b32_e32 v4, 0xffff, v3
	v_or_b32_e32 v5, 0x10000, v3
	s_delay_alu instid0(VALU_DEP_2) | instskip(NEXT) | instid1(VALU_DEP_2)
	v_cmp_eq_u32_e32 vcc_lo, 0, v4
	v_cndmask_b32_e32 v4, v5, v3, vcc_lo
; %bb.23:
	s_or_b32 exec_lo, exec_lo, s2
	s_delay_alu instid0(VALU_DEP_1) | instskip(NEXT) | instid1(VALU_DEP_1)
	v_lshrrev_b32_e32 v4, 16, v4
	v_mov_b32_e32 v3, v4
.LBB85_24:
	s_or_b32 exec_lo, exec_lo, s1
	v_cmp_gt_u32_e32 vcc_lo, 16, v2
	s_waitcnt lgkmcnt(0)
	v_cndmask_b32_e64 v5, 0, 1, vcc_lo
	s_delay_alu instid0(VALU_DEP_1) | instskip(NEXT) | instid1(VALU_DEP_1)
	v_lshlrev_b32_e32 v5, 4, v5
	v_add_lshl_u32 v5, v5, v2, 2
	v_add_nc_u32_e32 v2, 16, v2
	ds_bpermute_b32 v5, v5, v4
	v_cmp_gt_u32_e32 vcc_lo, s0, v2
	s_and_saveexec_b32 s0, vcc_lo
	s_cbranch_execz .LBB85_30
; %bb.25:
	v_lshlrev_b32_e32 v2, 16, v4
	s_waitcnt lgkmcnt(0)
	v_lshlrev_b32_e32 v3, 16, v5
	s_delay_alu instid0(VALU_DEP_1) | instskip(NEXT) | instid1(VALU_DEP_1)
	v_add_f32_e32 v2, v2, v3
	v_and_b32_e32 v3, 0x7f800000, v2
	s_delay_alu instid0(VALU_DEP_1) | instskip(SKIP_1) | instid1(SALU_CYCLE_1)
	v_cmp_ne_u32_e32 vcc_lo, 0x7f800000, v3
                                        ; implicit-def: $vgpr3
	s_and_saveexec_b32 s1, vcc_lo
	s_xor_b32 s1, exec_lo, s1
; %bb.26:
	v_bfe_u32 v3, v2, 16, 1
	s_delay_alu instid0(VALU_DEP_1)
	v_add3_u32 v3, v2, v3, 0x7fff
                                        ; implicit-def: $vgpr2
; %bb.27:
	s_and_not1_saveexec_b32 s1, s1
; %bb.28:
	v_and_b32_e32 v3, 0xffff, v2
	v_or_b32_e32 v4, 0x10000, v2
	s_delay_alu instid0(VALU_DEP_2) | instskip(NEXT) | instid1(VALU_DEP_2)
	v_cmp_eq_u32_e32 vcc_lo, 0, v3
	v_cndmask_b32_e32 v3, v4, v2, vcc_lo
; %bb.29:
	s_or_b32 exec_lo, exec_lo, s1
	s_delay_alu instid0(VALU_DEP_1)
	v_lshrrev_b32_e32 v3, 16, v3
.LBB85_30:
	s_or_b32 exec_lo, exec_lo, s0
	v_and_b32_e32 v0, 31, v0
	s_mov_b32 s0, exec_lo
	s_delay_alu instid0(VALU_DEP_1)
	v_cmpx_eq_u32_e32 0, v0
	s_cbranch_execz .LBB85_32
; %bb.31:
	v_lshrrev_b32_e32 v0, 4, v1
	s_delay_alu instid0(VALU_DEP_1)
	v_and_b32_e32 v0, 0xffffffe, v0
	global_store_b16 v0, v3, s[6:7]
.LBB85_32:
	s_nop 0
	s_sendmsg sendmsg(MSG_DEALLOC_VGPRS)
	s_endpgm
	.section	.rodata,"a",@progbits
	.p2align	6, 0x0
	.amdhsa_kernel _Z24warp_reduce_valid_kernelI12hip_bfloat16Lj128ELj32EENSt9enable_ifIXsr10test_utilsE35device_test_enabled_for_warp_size_vIXT1_EEEvE4typeEPT_S5_i
		.amdhsa_group_segment_fixed_size 0
		.amdhsa_private_segment_fixed_size 0
		.amdhsa_kernarg_size 280
		.amdhsa_user_sgpr_count 15
		.amdhsa_user_sgpr_dispatch_ptr 0
		.amdhsa_user_sgpr_queue_ptr 0
		.amdhsa_user_sgpr_kernarg_segment_ptr 1
		.amdhsa_user_sgpr_dispatch_id 0
		.amdhsa_user_sgpr_private_segment_size 0
		.amdhsa_wavefront_size32 1
		.amdhsa_uses_dynamic_stack 0
		.amdhsa_enable_private_segment 0
		.amdhsa_system_sgpr_workgroup_id_x 1
		.amdhsa_system_sgpr_workgroup_id_y 0
		.amdhsa_system_sgpr_workgroup_id_z 0
		.amdhsa_system_sgpr_workgroup_info 0
		.amdhsa_system_vgpr_workitem_id 0
		.amdhsa_next_free_vgpr 7
		.amdhsa_next_free_sgpr 16
		.amdhsa_reserve_vcc 1
		.amdhsa_float_round_mode_32 0
		.amdhsa_float_round_mode_16_64 0
		.amdhsa_float_denorm_mode_32 3
		.amdhsa_float_denorm_mode_16_64 3
		.amdhsa_dx10_clamp 1
		.amdhsa_ieee_mode 1
		.amdhsa_fp16_overflow 0
		.amdhsa_workgroup_processor_mode 1
		.amdhsa_memory_ordered 1
		.amdhsa_forward_progress 0
		.amdhsa_shared_vgpr_count 0
		.amdhsa_exception_fp_ieee_invalid_op 0
		.amdhsa_exception_fp_denorm_src 0
		.amdhsa_exception_fp_ieee_div_zero 0
		.amdhsa_exception_fp_ieee_overflow 0
		.amdhsa_exception_fp_ieee_underflow 0
		.amdhsa_exception_fp_ieee_inexact 0
		.amdhsa_exception_int_div_zero 0
	.end_amdhsa_kernel
	.section	.text._Z24warp_reduce_valid_kernelI12hip_bfloat16Lj128ELj32EENSt9enable_ifIXsr10test_utilsE35device_test_enabled_for_warp_size_vIXT1_EEEvE4typeEPT_S5_i,"axG",@progbits,_Z24warp_reduce_valid_kernelI12hip_bfloat16Lj128ELj32EENSt9enable_ifIXsr10test_utilsE35device_test_enabled_for_warp_size_vIXT1_EEEvE4typeEPT_S5_i,comdat
.Lfunc_end85:
	.size	_Z24warp_reduce_valid_kernelI12hip_bfloat16Lj128ELj32EENSt9enable_ifIXsr10test_utilsE35device_test_enabled_for_warp_size_vIXT1_EEEvE4typeEPT_S5_i, .Lfunc_end85-_Z24warp_reduce_valid_kernelI12hip_bfloat16Lj128ELj32EENSt9enable_ifIXsr10test_utilsE35device_test_enabled_for_warp_size_vIXT1_EEEvE4typeEPT_S5_i
                                        ; -- End function
	.section	.AMDGPU.csdata,"",@progbits
; Kernel info:
; codeLenInByte = 1060
; NumSgprs: 18
; NumVgprs: 7
; ScratchSize: 0
; MemoryBound: 0
; FloatMode: 240
; IeeeMode: 1
; LDSByteSize: 0 bytes/workgroup (compile time only)
; SGPRBlocks: 2
; VGPRBlocks: 0
; NumSGPRsForWavesPerEU: 18
; NumVGPRsForWavesPerEU: 7
; Occupancy: 16
; WaveLimiterHint : 0
; COMPUTE_PGM_RSRC2:SCRATCH_EN: 0
; COMPUTE_PGM_RSRC2:USER_SGPR: 15
; COMPUTE_PGM_RSRC2:TRAP_HANDLER: 0
; COMPUTE_PGM_RSRC2:TGID_X_EN: 1
; COMPUTE_PGM_RSRC2:TGID_Y_EN: 0
; COMPUTE_PGM_RSRC2:TGID_Z_EN: 0
; COMPUTE_PGM_RSRC2:TIDIG_COMP_CNT: 0
	.section	.text._Z24warp_reduce_valid_kernelI12hip_bfloat16Lj64ELj16EENSt9enable_ifIXsr10test_utilsE35device_test_enabled_for_warp_size_vIXT1_EEEvE4typeEPT_S5_i,"axG",@progbits,_Z24warp_reduce_valid_kernelI12hip_bfloat16Lj64ELj16EENSt9enable_ifIXsr10test_utilsE35device_test_enabled_for_warp_size_vIXT1_EEEvE4typeEPT_S5_i,comdat
	.protected	_Z24warp_reduce_valid_kernelI12hip_bfloat16Lj64ELj16EENSt9enable_ifIXsr10test_utilsE35device_test_enabled_for_warp_size_vIXT1_EEEvE4typeEPT_S5_i ; -- Begin function _Z24warp_reduce_valid_kernelI12hip_bfloat16Lj64ELj16EENSt9enable_ifIXsr10test_utilsE35device_test_enabled_for_warp_size_vIXT1_EEEvE4typeEPT_S5_i
	.globl	_Z24warp_reduce_valid_kernelI12hip_bfloat16Lj64ELj16EENSt9enable_ifIXsr10test_utilsE35device_test_enabled_for_warp_size_vIXT1_EEEvE4typeEPT_S5_i
	.p2align	8
	.type	_Z24warp_reduce_valid_kernelI12hip_bfloat16Lj64ELj16EENSt9enable_ifIXsr10test_utilsE35device_test_enabled_for_warp_size_vIXT1_EEEvE4typeEPT_S5_i,@function
_Z24warp_reduce_valid_kernelI12hip_bfloat16Lj64ELj16EENSt9enable_ifIXsr10test_utilsE35device_test_enabled_for_warp_size_vIXT1_EEEvE4typeEPT_S5_i: ; @_Z24warp_reduce_valid_kernelI12hip_bfloat16Lj64ELj16EENSt9enable_ifIXsr10test_utilsE35device_test_enabled_for_warp_size_vIXT1_EEEvE4typeEPT_S5_i
; %bb.0:
	s_clause 0x2
	s_load_b32 s2, s[0:1], 0x24
	s_load_b128 s[4:7], s[0:1], 0x0
	s_load_b32 s0, s[0:1], 0x10
	s_mov_b32 s1, exec_lo
	s_waitcnt lgkmcnt(0)
	s_and_b32 s2, s2, 0xffff
	s_delay_alu instid0(SALU_CYCLE_1) | instskip(SKIP_1) | instid1(VALU_DEP_1)
	v_mad_u64_u32 v[1:2], null, s15, s2, v[0:1]
	v_mov_b32_e32 v2, 0
	v_lshlrev_b64 v[2:3], 1, v[1:2]
	s_delay_alu instid0(VALU_DEP_1) | instskip(NEXT) | instid1(VALU_DEP_2)
	v_add_co_u32 v2, vcc_lo, s4, v2
	v_add_co_ci_u32_e32 v3, vcc_lo, s5, v3, vcc_lo
	global_load_u16 v4, v[2:3], off
	v_mbcnt_lo_u32_b32 v3, -1, 0
	s_delay_alu instid0(VALU_DEP_1) | instskip(NEXT) | instid1(VALU_DEP_1)
	v_and_b32_e32 v2, 15, v3
	v_cmp_ne_u32_e32 vcc_lo, 15, v2
	v_add_nc_u32_e32 v7, 1, v2
	v_add_co_ci_u32_e32 v6, vcc_lo, 0, v3, vcc_lo
	s_delay_alu instid0(VALU_DEP_1)
	v_lshlrev_b32_e32 v6, 2, v6
	s_waitcnt vmcnt(0)
	v_and_b32_e32 v5, 0xffff, v4
	ds_bpermute_b32 v6, v6, v5
	v_cmpx_gt_u32_e64 s0, v7
	s_cbranch_execz .LBB86_6
; %bb.1:
	v_lshlrev_b32_e32 v4, 16, v5
	s_waitcnt lgkmcnt(0)
	v_lshlrev_b32_e32 v5, 16, v6
	s_delay_alu instid0(VALU_DEP_1) | instskip(NEXT) | instid1(VALU_DEP_1)
	v_add_f32_e32 v4, v4, v5
	v_and_b32_e32 v5, 0x7f800000, v4
	s_delay_alu instid0(VALU_DEP_1) | instskip(SKIP_1) | instid1(SALU_CYCLE_1)
	v_cmp_ne_u32_e32 vcc_lo, 0x7f800000, v5
                                        ; implicit-def: $vgpr5
	s_and_saveexec_b32 s2, vcc_lo
	s_xor_b32 s2, exec_lo, s2
; %bb.2:
	v_bfe_u32 v5, v4, 16, 1
	s_delay_alu instid0(VALU_DEP_1)
	v_add3_u32 v5, v4, v5, 0x7fff
                                        ; implicit-def: $vgpr4
; %bb.3:
	s_and_not1_saveexec_b32 s2, s2
; %bb.4:
	v_and_b32_e32 v5, 0xffff, v4
	v_or_b32_e32 v6, 0x10000, v4
	s_delay_alu instid0(VALU_DEP_2) | instskip(NEXT) | instid1(VALU_DEP_2)
	v_cmp_eq_u32_e32 vcc_lo, 0, v5
	v_cndmask_b32_e32 v5, v6, v4, vcc_lo
; %bb.5:
	s_or_b32 exec_lo, exec_lo, s2
	s_delay_alu instid0(VALU_DEP_1) | instskip(NEXT) | instid1(VALU_DEP_1)
	v_lshrrev_b32_e32 v5, 16, v5
	v_mov_b32_e32 v4, v5
.LBB86_6:
	s_or_b32 exec_lo, exec_lo, s1
	v_cmp_gt_u32_e32 vcc_lo, 14, v2
	v_add_nc_u32_e32 v7, 2, v2
	s_mov_b32 s1, exec_lo
	s_waitcnt lgkmcnt(0)
	v_cndmask_b32_e64 v6, 0, 1, vcc_lo
	s_delay_alu instid0(VALU_DEP_1) | instskip(NEXT) | instid1(VALU_DEP_1)
	v_lshlrev_b32_e32 v6, 1, v6
	v_add_lshl_u32 v6, v6, v3, 2
	ds_bpermute_b32 v6, v6, v5
	v_cmpx_gt_u32_e64 s0, v7
	s_cbranch_execz .LBB86_12
; %bb.7:
	v_lshlrev_b32_e32 v4, 16, v5
	s_waitcnt lgkmcnt(0)
	v_lshlrev_b32_e32 v5, 16, v6
	s_delay_alu instid0(VALU_DEP_1) | instskip(NEXT) | instid1(VALU_DEP_1)
	v_add_f32_e32 v4, v4, v5
	v_and_b32_e32 v5, 0x7f800000, v4
	s_delay_alu instid0(VALU_DEP_1) | instskip(SKIP_1) | instid1(SALU_CYCLE_1)
	v_cmp_ne_u32_e32 vcc_lo, 0x7f800000, v5
                                        ; implicit-def: $vgpr5
	s_and_saveexec_b32 s2, vcc_lo
	s_xor_b32 s2, exec_lo, s2
; %bb.8:
	v_bfe_u32 v5, v4, 16, 1
	s_delay_alu instid0(VALU_DEP_1)
	v_add3_u32 v5, v4, v5, 0x7fff
                                        ; implicit-def: $vgpr4
; %bb.9:
	s_and_not1_saveexec_b32 s2, s2
; %bb.10:
	v_and_b32_e32 v5, 0xffff, v4
	v_or_b32_e32 v6, 0x10000, v4
	s_delay_alu instid0(VALU_DEP_2) | instskip(NEXT) | instid1(VALU_DEP_2)
	v_cmp_eq_u32_e32 vcc_lo, 0, v5
	v_cndmask_b32_e32 v5, v6, v4, vcc_lo
; %bb.11:
	s_or_b32 exec_lo, exec_lo, s2
	s_delay_alu instid0(VALU_DEP_1) | instskip(NEXT) | instid1(VALU_DEP_1)
	v_lshrrev_b32_e32 v5, 16, v5
	v_mov_b32_e32 v4, v5
.LBB86_12:
	s_or_b32 exec_lo, exec_lo, s1
	v_cmp_gt_u32_e32 vcc_lo, 12, v2
	v_add_nc_u32_e32 v7, 4, v2
	s_mov_b32 s1, exec_lo
	s_waitcnt lgkmcnt(0)
	v_cndmask_b32_e64 v6, 0, 1, vcc_lo
	s_delay_alu instid0(VALU_DEP_1) | instskip(NEXT) | instid1(VALU_DEP_1)
	v_lshlrev_b32_e32 v6, 2, v6
	v_add_lshl_u32 v6, v6, v3, 2
	ds_bpermute_b32 v6, v6, v5
	v_cmpx_gt_u32_e64 s0, v7
	s_cbranch_execz .LBB86_18
; %bb.13:
	v_lshlrev_b32_e32 v4, 16, v5
	s_waitcnt lgkmcnt(0)
	v_lshlrev_b32_e32 v5, 16, v6
	s_delay_alu instid0(VALU_DEP_1) | instskip(NEXT) | instid1(VALU_DEP_1)
	v_add_f32_e32 v4, v4, v5
	v_and_b32_e32 v5, 0x7f800000, v4
	s_delay_alu instid0(VALU_DEP_1) | instskip(SKIP_1) | instid1(SALU_CYCLE_1)
	v_cmp_ne_u32_e32 vcc_lo, 0x7f800000, v5
                                        ; implicit-def: $vgpr5
	s_and_saveexec_b32 s2, vcc_lo
	s_xor_b32 s2, exec_lo, s2
; %bb.14:
	v_bfe_u32 v5, v4, 16, 1
	s_delay_alu instid0(VALU_DEP_1)
	v_add3_u32 v5, v4, v5, 0x7fff
                                        ; implicit-def: $vgpr4
; %bb.15:
	s_and_not1_saveexec_b32 s2, s2
; %bb.16:
	v_and_b32_e32 v5, 0xffff, v4
	v_or_b32_e32 v6, 0x10000, v4
	s_delay_alu instid0(VALU_DEP_2) | instskip(NEXT) | instid1(VALU_DEP_2)
	v_cmp_eq_u32_e32 vcc_lo, 0, v5
	v_cndmask_b32_e32 v5, v6, v4, vcc_lo
; %bb.17:
	s_or_b32 exec_lo, exec_lo, s2
	s_delay_alu instid0(VALU_DEP_1) | instskip(NEXT) | instid1(VALU_DEP_1)
	v_lshrrev_b32_e32 v5, 16, v5
	v_mov_b32_e32 v4, v5
.LBB86_18:
	s_or_b32 exec_lo, exec_lo, s1
	v_cmp_gt_u32_e32 vcc_lo, 8, v2
	v_add_nc_u32_e32 v2, 8, v2
	s_waitcnt lgkmcnt(0)
	v_cndmask_b32_e64 v6, 0, 1, vcc_lo
	s_delay_alu instid0(VALU_DEP_2) | instskip(NEXT) | instid1(VALU_DEP_2)
	v_cmp_gt_u32_e32 vcc_lo, s0, v2
	v_lshlrev_b32_e32 v6, 3, v6
	s_delay_alu instid0(VALU_DEP_1)
	v_add_lshl_u32 v3, v6, v3, 2
	ds_bpermute_b32 v3, v3, v5
	s_and_saveexec_b32 s0, vcc_lo
	s_cbranch_execz .LBB86_24
; %bb.19:
	v_lshlrev_b32_e32 v2, 16, v5
	s_waitcnt lgkmcnt(0)
	v_lshlrev_b32_e32 v3, 16, v3
	s_delay_alu instid0(VALU_DEP_1) | instskip(NEXT) | instid1(VALU_DEP_1)
	v_add_f32_e32 v2, v2, v3
	v_and_b32_e32 v3, 0x7f800000, v2
	s_delay_alu instid0(VALU_DEP_1) | instskip(SKIP_1) | instid1(SALU_CYCLE_1)
	v_cmp_ne_u32_e32 vcc_lo, 0x7f800000, v3
                                        ; implicit-def: $vgpr3
	s_and_saveexec_b32 s1, vcc_lo
	s_xor_b32 s1, exec_lo, s1
; %bb.20:
	v_bfe_u32 v3, v2, 16, 1
	s_delay_alu instid0(VALU_DEP_1)
	v_add3_u32 v3, v2, v3, 0x7fff
                                        ; implicit-def: $vgpr2
; %bb.21:
	s_and_not1_saveexec_b32 s1, s1
; %bb.22:
	v_and_b32_e32 v3, 0xffff, v2
	v_or_b32_e32 v4, 0x10000, v2
	s_delay_alu instid0(VALU_DEP_2) | instskip(NEXT) | instid1(VALU_DEP_2)
	v_cmp_eq_u32_e32 vcc_lo, 0, v3
	v_cndmask_b32_e32 v3, v4, v2, vcc_lo
; %bb.23:
	s_or_b32 exec_lo, exec_lo, s1
	s_delay_alu instid0(VALU_DEP_1)
	v_lshrrev_b32_e32 v4, 16, v3
.LBB86_24:
	s_or_b32 exec_lo, exec_lo, s0
	v_and_b32_e32 v0, 15, v0
	s_mov_b32 s0, exec_lo
	s_delay_alu instid0(VALU_DEP_1)
	v_cmpx_eq_u32_e32 0, v0
	s_cbranch_execz .LBB86_26
; %bb.25:
	v_lshrrev_b32_e32 v0, 3, v1
	s_delay_alu instid0(VALU_DEP_1)
	v_and_b32_e32 v0, 0x1ffffffe, v0
	global_store_b16 v0, v4, s[6:7]
.LBB86_26:
	s_nop 0
	s_sendmsg sendmsg(MSG_DEALLOC_VGPRS)
	s_endpgm
	.section	.rodata,"a",@progbits
	.p2align	6, 0x0
	.amdhsa_kernel _Z24warp_reduce_valid_kernelI12hip_bfloat16Lj64ELj16EENSt9enable_ifIXsr10test_utilsE35device_test_enabled_for_warp_size_vIXT1_EEEvE4typeEPT_S5_i
		.amdhsa_group_segment_fixed_size 0
		.amdhsa_private_segment_fixed_size 0
		.amdhsa_kernarg_size 280
		.amdhsa_user_sgpr_count 15
		.amdhsa_user_sgpr_dispatch_ptr 0
		.amdhsa_user_sgpr_queue_ptr 0
		.amdhsa_user_sgpr_kernarg_segment_ptr 1
		.amdhsa_user_sgpr_dispatch_id 0
		.amdhsa_user_sgpr_private_segment_size 0
		.amdhsa_wavefront_size32 1
		.amdhsa_uses_dynamic_stack 0
		.amdhsa_enable_private_segment 0
		.amdhsa_system_sgpr_workgroup_id_x 1
		.amdhsa_system_sgpr_workgroup_id_y 0
		.amdhsa_system_sgpr_workgroup_id_z 0
		.amdhsa_system_sgpr_workgroup_info 0
		.amdhsa_system_vgpr_workitem_id 0
		.amdhsa_next_free_vgpr 8
		.amdhsa_next_free_sgpr 16
		.amdhsa_reserve_vcc 1
		.amdhsa_float_round_mode_32 0
		.amdhsa_float_round_mode_16_64 0
		.amdhsa_float_denorm_mode_32 3
		.amdhsa_float_denorm_mode_16_64 3
		.amdhsa_dx10_clamp 1
		.amdhsa_ieee_mode 1
		.amdhsa_fp16_overflow 0
		.amdhsa_workgroup_processor_mode 1
		.amdhsa_memory_ordered 1
		.amdhsa_forward_progress 0
		.amdhsa_shared_vgpr_count 0
		.amdhsa_exception_fp_ieee_invalid_op 0
		.amdhsa_exception_fp_denorm_src 0
		.amdhsa_exception_fp_ieee_div_zero 0
		.amdhsa_exception_fp_ieee_overflow 0
		.amdhsa_exception_fp_ieee_underflow 0
		.amdhsa_exception_fp_ieee_inexact 0
		.amdhsa_exception_int_div_zero 0
	.end_amdhsa_kernel
	.section	.text._Z24warp_reduce_valid_kernelI12hip_bfloat16Lj64ELj16EENSt9enable_ifIXsr10test_utilsE35device_test_enabled_for_warp_size_vIXT1_EEEvE4typeEPT_S5_i,"axG",@progbits,_Z24warp_reduce_valid_kernelI12hip_bfloat16Lj64ELj16EENSt9enable_ifIXsr10test_utilsE35device_test_enabled_for_warp_size_vIXT1_EEEvE4typeEPT_S5_i,comdat
.Lfunc_end86:
	.size	_Z24warp_reduce_valid_kernelI12hip_bfloat16Lj64ELj16EENSt9enable_ifIXsr10test_utilsE35device_test_enabled_for_warp_size_vIXT1_EEEvE4typeEPT_S5_i, .Lfunc_end86-_Z24warp_reduce_valid_kernelI12hip_bfloat16Lj64ELj16EENSt9enable_ifIXsr10test_utilsE35device_test_enabled_for_warp_size_vIXT1_EEEvE4typeEPT_S5_i
                                        ; -- End function
	.section	.AMDGPU.csdata,"",@progbits
; Kernel info:
; codeLenInByte = 888
; NumSgprs: 18
; NumVgprs: 8
; ScratchSize: 0
; MemoryBound: 0
; FloatMode: 240
; IeeeMode: 1
; LDSByteSize: 0 bytes/workgroup (compile time only)
; SGPRBlocks: 2
; VGPRBlocks: 0
; NumSGPRsForWavesPerEU: 18
; NumVGPRsForWavesPerEU: 8
; Occupancy: 16
; WaveLimiterHint : 0
; COMPUTE_PGM_RSRC2:SCRATCH_EN: 0
; COMPUTE_PGM_RSRC2:USER_SGPR: 15
; COMPUTE_PGM_RSRC2:TRAP_HANDLER: 0
; COMPUTE_PGM_RSRC2:TGID_X_EN: 1
; COMPUTE_PGM_RSRC2:TGID_Y_EN: 0
; COMPUTE_PGM_RSRC2:TGID_Z_EN: 0
; COMPUTE_PGM_RSRC2:TIDIG_COMP_CNT: 0
	.section	.text._Z24warp_reduce_valid_kernelI12hip_bfloat16Lj32ELj8EENSt9enable_ifIXsr10test_utilsE35device_test_enabled_for_warp_size_vIXT1_EEEvE4typeEPT_S5_i,"axG",@progbits,_Z24warp_reduce_valid_kernelI12hip_bfloat16Lj32ELj8EENSt9enable_ifIXsr10test_utilsE35device_test_enabled_for_warp_size_vIXT1_EEEvE4typeEPT_S5_i,comdat
	.protected	_Z24warp_reduce_valid_kernelI12hip_bfloat16Lj32ELj8EENSt9enable_ifIXsr10test_utilsE35device_test_enabled_for_warp_size_vIXT1_EEEvE4typeEPT_S5_i ; -- Begin function _Z24warp_reduce_valid_kernelI12hip_bfloat16Lj32ELj8EENSt9enable_ifIXsr10test_utilsE35device_test_enabled_for_warp_size_vIXT1_EEEvE4typeEPT_S5_i
	.globl	_Z24warp_reduce_valid_kernelI12hip_bfloat16Lj32ELj8EENSt9enable_ifIXsr10test_utilsE35device_test_enabled_for_warp_size_vIXT1_EEEvE4typeEPT_S5_i
	.p2align	8
	.type	_Z24warp_reduce_valid_kernelI12hip_bfloat16Lj32ELj8EENSt9enable_ifIXsr10test_utilsE35device_test_enabled_for_warp_size_vIXT1_EEEvE4typeEPT_S5_i,@function
_Z24warp_reduce_valid_kernelI12hip_bfloat16Lj32ELj8EENSt9enable_ifIXsr10test_utilsE35device_test_enabled_for_warp_size_vIXT1_EEEvE4typeEPT_S5_i: ; @_Z24warp_reduce_valid_kernelI12hip_bfloat16Lj32ELj8EENSt9enable_ifIXsr10test_utilsE35device_test_enabled_for_warp_size_vIXT1_EEEvE4typeEPT_S5_i
; %bb.0:
	s_clause 0x2
	s_load_b32 s2, s[0:1], 0x24
	s_load_b128 s[4:7], s[0:1], 0x0
	s_load_b32 s0, s[0:1], 0x10
	s_mov_b32 s1, exec_lo
	s_waitcnt lgkmcnt(0)
	s_and_b32 s2, s2, 0xffff
	s_delay_alu instid0(SALU_CYCLE_1) | instskip(SKIP_1) | instid1(VALU_DEP_1)
	v_mad_u64_u32 v[1:2], null, s15, s2, v[0:1]
	v_mov_b32_e32 v2, 0
	v_lshlrev_b64 v[2:3], 1, v[1:2]
	s_delay_alu instid0(VALU_DEP_1) | instskip(NEXT) | instid1(VALU_DEP_2)
	v_add_co_u32 v2, vcc_lo, s4, v2
	v_add_co_ci_u32_e32 v3, vcc_lo, s5, v3, vcc_lo
	global_load_u16 v4, v[2:3], off
	v_mbcnt_lo_u32_b32 v3, -1, 0
	s_delay_alu instid0(VALU_DEP_1) | instskip(NEXT) | instid1(VALU_DEP_1)
	v_and_b32_e32 v2, 7, v3
	v_cmp_ne_u32_e32 vcc_lo, 7, v2
	v_add_nc_u32_e32 v7, 1, v2
	v_add_co_ci_u32_e32 v6, vcc_lo, 0, v3, vcc_lo
	s_delay_alu instid0(VALU_DEP_1)
	v_lshlrev_b32_e32 v6, 2, v6
	s_waitcnt vmcnt(0)
	v_and_b32_e32 v5, 0xffff, v4
	ds_bpermute_b32 v6, v6, v5
	v_cmpx_gt_u32_e64 s0, v7
	s_cbranch_execz .LBB87_6
; %bb.1:
	v_lshlrev_b32_e32 v4, 16, v5
	s_waitcnt lgkmcnt(0)
	v_lshlrev_b32_e32 v5, 16, v6
	s_delay_alu instid0(VALU_DEP_1) | instskip(NEXT) | instid1(VALU_DEP_1)
	v_add_f32_e32 v4, v4, v5
	v_and_b32_e32 v5, 0x7f800000, v4
	s_delay_alu instid0(VALU_DEP_1) | instskip(SKIP_1) | instid1(SALU_CYCLE_1)
	v_cmp_ne_u32_e32 vcc_lo, 0x7f800000, v5
                                        ; implicit-def: $vgpr5
	s_and_saveexec_b32 s2, vcc_lo
	s_xor_b32 s2, exec_lo, s2
; %bb.2:
	v_bfe_u32 v5, v4, 16, 1
	s_delay_alu instid0(VALU_DEP_1)
	v_add3_u32 v5, v4, v5, 0x7fff
                                        ; implicit-def: $vgpr4
; %bb.3:
	s_and_not1_saveexec_b32 s2, s2
; %bb.4:
	v_and_b32_e32 v5, 0xffff, v4
	v_or_b32_e32 v6, 0x10000, v4
	s_delay_alu instid0(VALU_DEP_2) | instskip(NEXT) | instid1(VALU_DEP_2)
	v_cmp_eq_u32_e32 vcc_lo, 0, v5
	v_cndmask_b32_e32 v5, v6, v4, vcc_lo
; %bb.5:
	s_or_b32 exec_lo, exec_lo, s2
	s_delay_alu instid0(VALU_DEP_1) | instskip(NEXT) | instid1(VALU_DEP_1)
	v_lshrrev_b32_e32 v5, 16, v5
	v_mov_b32_e32 v4, v5
.LBB87_6:
	s_or_b32 exec_lo, exec_lo, s1
	v_cmp_gt_u32_e32 vcc_lo, 6, v2
	v_add_nc_u32_e32 v7, 2, v2
	s_mov_b32 s1, exec_lo
	s_waitcnt lgkmcnt(0)
	v_cndmask_b32_e64 v6, 0, 1, vcc_lo
	s_delay_alu instid0(VALU_DEP_1) | instskip(NEXT) | instid1(VALU_DEP_1)
	v_lshlrev_b32_e32 v6, 1, v6
	v_add_lshl_u32 v6, v6, v3, 2
	ds_bpermute_b32 v6, v6, v5
	v_cmpx_gt_u32_e64 s0, v7
	s_cbranch_execz .LBB87_12
; %bb.7:
	v_lshlrev_b32_e32 v4, 16, v5
	s_waitcnt lgkmcnt(0)
	v_lshlrev_b32_e32 v5, 16, v6
	s_delay_alu instid0(VALU_DEP_1) | instskip(NEXT) | instid1(VALU_DEP_1)
	v_add_f32_e32 v4, v4, v5
	v_and_b32_e32 v5, 0x7f800000, v4
	s_delay_alu instid0(VALU_DEP_1) | instskip(SKIP_1) | instid1(SALU_CYCLE_1)
	v_cmp_ne_u32_e32 vcc_lo, 0x7f800000, v5
                                        ; implicit-def: $vgpr5
	s_and_saveexec_b32 s2, vcc_lo
	s_xor_b32 s2, exec_lo, s2
; %bb.8:
	v_bfe_u32 v5, v4, 16, 1
	s_delay_alu instid0(VALU_DEP_1)
	v_add3_u32 v5, v4, v5, 0x7fff
                                        ; implicit-def: $vgpr4
; %bb.9:
	s_and_not1_saveexec_b32 s2, s2
; %bb.10:
	v_and_b32_e32 v5, 0xffff, v4
	v_or_b32_e32 v6, 0x10000, v4
	s_delay_alu instid0(VALU_DEP_2) | instskip(NEXT) | instid1(VALU_DEP_2)
	v_cmp_eq_u32_e32 vcc_lo, 0, v5
	v_cndmask_b32_e32 v5, v6, v4, vcc_lo
; %bb.11:
	s_or_b32 exec_lo, exec_lo, s2
	s_delay_alu instid0(VALU_DEP_1) | instskip(NEXT) | instid1(VALU_DEP_1)
	v_lshrrev_b32_e32 v5, 16, v5
	v_mov_b32_e32 v4, v5
.LBB87_12:
	s_or_b32 exec_lo, exec_lo, s1
	v_cmp_gt_u32_e32 vcc_lo, 4, v2
	v_add_nc_u32_e32 v2, 4, v2
	s_waitcnt lgkmcnt(0)
	v_cndmask_b32_e64 v6, 0, 1, vcc_lo
	s_delay_alu instid0(VALU_DEP_2) | instskip(NEXT) | instid1(VALU_DEP_2)
	v_cmp_gt_u32_e32 vcc_lo, s0, v2
	v_lshlrev_b32_e32 v6, 2, v6
	s_delay_alu instid0(VALU_DEP_1)
	v_add_lshl_u32 v3, v6, v3, 2
	ds_bpermute_b32 v3, v3, v5
	s_and_saveexec_b32 s0, vcc_lo
	s_cbranch_execz .LBB87_18
; %bb.13:
	v_lshlrev_b32_e32 v2, 16, v5
	s_waitcnt lgkmcnt(0)
	v_lshlrev_b32_e32 v3, 16, v3
	s_delay_alu instid0(VALU_DEP_1) | instskip(NEXT) | instid1(VALU_DEP_1)
	v_add_f32_e32 v2, v2, v3
	v_and_b32_e32 v3, 0x7f800000, v2
	s_delay_alu instid0(VALU_DEP_1) | instskip(SKIP_1) | instid1(SALU_CYCLE_1)
	v_cmp_ne_u32_e32 vcc_lo, 0x7f800000, v3
                                        ; implicit-def: $vgpr3
	s_and_saveexec_b32 s1, vcc_lo
	s_xor_b32 s1, exec_lo, s1
; %bb.14:
	v_bfe_u32 v3, v2, 16, 1
	s_delay_alu instid0(VALU_DEP_1)
	v_add3_u32 v3, v2, v3, 0x7fff
                                        ; implicit-def: $vgpr2
; %bb.15:
	s_and_not1_saveexec_b32 s1, s1
; %bb.16:
	v_and_b32_e32 v3, 0xffff, v2
	v_or_b32_e32 v4, 0x10000, v2
	s_delay_alu instid0(VALU_DEP_2) | instskip(NEXT) | instid1(VALU_DEP_2)
	v_cmp_eq_u32_e32 vcc_lo, 0, v3
	v_cndmask_b32_e32 v3, v4, v2, vcc_lo
; %bb.17:
	s_or_b32 exec_lo, exec_lo, s1
	s_delay_alu instid0(VALU_DEP_1)
	v_lshrrev_b32_e32 v4, 16, v3
.LBB87_18:
	s_or_b32 exec_lo, exec_lo, s0
	v_and_b32_e32 v0, 7, v0
	s_mov_b32 s0, exec_lo
	s_delay_alu instid0(VALU_DEP_1)
	v_cmpx_eq_u32_e32 0, v0
	s_cbranch_execz .LBB87_20
; %bb.19:
	v_lshrrev_b32_e32 v0, 2, v1
	s_delay_alu instid0(VALU_DEP_1)
	v_and_b32_e32 v0, 0x3ffffffe, v0
	global_store_b16 v0, v4, s[6:7]
.LBB87_20:
	s_nop 0
	s_sendmsg sendmsg(MSG_DEALLOC_VGPRS)
	s_endpgm
	.section	.rodata,"a",@progbits
	.p2align	6, 0x0
	.amdhsa_kernel _Z24warp_reduce_valid_kernelI12hip_bfloat16Lj32ELj8EENSt9enable_ifIXsr10test_utilsE35device_test_enabled_for_warp_size_vIXT1_EEEvE4typeEPT_S5_i
		.amdhsa_group_segment_fixed_size 0
		.amdhsa_private_segment_fixed_size 0
		.amdhsa_kernarg_size 280
		.amdhsa_user_sgpr_count 15
		.amdhsa_user_sgpr_dispatch_ptr 0
		.amdhsa_user_sgpr_queue_ptr 0
		.amdhsa_user_sgpr_kernarg_segment_ptr 1
		.amdhsa_user_sgpr_dispatch_id 0
		.amdhsa_user_sgpr_private_segment_size 0
		.amdhsa_wavefront_size32 1
		.amdhsa_uses_dynamic_stack 0
		.amdhsa_enable_private_segment 0
		.amdhsa_system_sgpr_workgroup_id_x 1
		.amdhsa_system_sgpr_workgroup_id_y 0
		.amdhsa_system_sgpr_workgroup_id_z 0
		.amdhsa_system_sgpr_workgroup_info 0
		.amdhsa_system_vgpr_workitem_id 0
		.amdhsa_next_free_vgpr 8
		.amdhsa_next_free_sgpr 16
		.amdhsa_reserve_vcc 1
		.amdhsa_float_round_mode_32 0
		.amdhsa_float_round_mode_16_64 0
		.amdhsa_float_denorm_mode_32 3
		.amdhsa_float_denorm_mode_16_64 3
		.amdhsa_dx10_clamp 1
		.amdhsa_ieee_mode 1
		.amdhsa_fp16_overflow 0
		.amdhsa_workgroup_processor_mode 1
		.amdhsa_memory_ordered 1
		.amdhsa_forward_progress 0
		.amdhsa_shared_vgpr_count 0
		.amdhsa_exception_fp_ieee_invalid_op 0
		.amdhsa_exception_fp_denorm_src 0
		.amdhsa_exception_fp_ieee_div_zero 0
		.amdhsa_exception_fp_ieee_overflow 0
		.amdhsa_exception_fp_ieee_underflow 0
		.amdhsa_exception_fp_ieee_inexact 0
		.amdhsa_exception_int_div_zero 0
	.end_amdhsa_kernel
	.section	.text._Z24warp_reduce_valid_kernelI12hip_bfloat16Lj32ELj8EENSt9enable_ifIXsr10test_utilsE35device_test_enabled_for_warp_size_vIXT1_EEEvE4typeEPT_S5_i,"axG",@progbits,_Z24warp_reduce_valid_kernelI12hip_bfloat16Lj32ELj8EENSt9enable_ifIXsr10test_utilsE35device_test_enabled_for_warp_size_vIXT1_EEEvE4typeEPT_S5_i,comdat
.Lfunc_end87:
	.size	_Z24warp_reduce_valid_kernelI12hip_bfloat16Lj32ELj8EENSt9enable_ifIXsr10test_utilsE35device_test_enabled_for_warp_size_vIXT1_EEEvE4typeEPT_S5_i, .Lfunc_end87-_Z24warp_reduce_valid_kernelI12hip_bfloat16Lj32ELj8EENSt9enable_ifIXsr10test_utilsE35device_test_enabled_for_warp_size_vIXT1_EEEvE4typeEPT_S5_i
                                        ; -- End function
	.section	.AMDGPU.csdata,"",@progbits
; Kernel info:
; codeLenInByte = 704
; NumSgprs: 18
; NumVgprs: 8
; ScratchSize: 0
; MemoryBound: 0
; FloatMode: 240
; IeeeMode: 1
; LDSByteSize: 0 bytes/workgroup (compile time only)
; SGPRBlocks: 2
; VGPRBlocks: 0
; NumSGPRsForWavesPerEU: 18
; NumVGPRsForWavesPerEU: 8
; Occupancy: 16
; WaveLimiterHint : 0
; COMPUTE_PGM_RSRC2:SCRATCH_EN: 0
; COMPUTE_PGM_RSRC2:USER_SGPR: 15
; COMPUTE_PGM_RSRC2:TRAP_HANDLER: 0
; COMPUTE_PGM_RSRC2:TGID_X_EN: 1
; COMPUTE_PGM_RSRC2:TGID_Y_EN: 0
; COMPUTE_PGM_RSRC2:TGID_Z_EN: 0
; COMPUTE_PGM_RSRC2:TIDIG_COMP_CNT: 0
	.section	.text._Z24warp_reduce_valid_kernelI12hip_bfloat16Lj64ELj8EENSt9enable_ifIXsr10test_utilsE35device_test_enabled_for_warp_size_vIXT1_EEEvE4typeEPT_S5_i,"axG",@progbits,_Z24warp_reduce_valid_kernelI12hip_bfloat16Lj64ELj8EENSt9enable_ifIXsr10test_utilsE35device_test_enabled_for_warp_size_vIXT1_EEEvE4typeEPT_S5_i,comdat
	.protected	_Z24warp_reduce_valid_kernelI12hip_bfloat16Lj64ELj8EENSt9enable_ifIXsr10test_utilsE35device_test_enabled_for_warp_size_vIXT1_EEEvE4typeEPT_S5_i ; -- Begin function _Z24warp_reduce_valid_kernelI12hip_bfloat16Lj64ELj8EENSt9enable_ifIXsr10test_utilsE35device_test_enabled_for_warp_size_vIXT1_EEEvE4typeEPT_S5_i
	.globl	_Z24warp_reduce_valid_kernelI12hip_bfloat16Lj64ELj8EENSt9enable_ifIXsr10test_utilsE35device_test_enabled_for_warp_size_vIXT1_EEEvE4typeEPT_S5_i
	.p2align	8
	.type	_Z24warp_reduce_valid_kernelI12hip_bfloat16Lj64ELj8EENSt9enable_ifIXsr10test_utilsE35device_test_enabled_for_warp_size_vIXT1_EEEvE4typeEPT_S5_i,@function
_Z24warp_reduce_valid_kernelI12hip_bfloat16Lj64ELj8EENSt9enable_ifIXsr10test_utilsE35device_test_enabled_for_warp_size_vIXT1_EEEvE4typeEPT_S5_i: ; @_Z24warp_reduce_valid_kernelI12hip_bfloat16Lj64ELj8EENSt9enable_ifIXsr10test_utilsE35device_test_enabled_for_warp_size_vIXT1_EEEvE4typeEPT_S5_i
; %bb.0:
	s_clause 0x2
	s_load_b32 s2, s[0:1], 0x24
	s_load_b128 s[4:7], s[0:1], 0x0
	s_load_b32 s0, s[0:1], 0x10
	s_mov_b32 s1, exec_lo
	s_waitcnt lgkmcnt(0)
	s_and_b32 s2, s2, 0xffff
	s_delay_alu instid0(SALU_CYCLE_1) | instskip(SKIP_1) | instid1(VALU_DEP_1)
	v_mad_u64_u32 v[1:2], null, s15, s2, v[0:1]
	v_mov_b32_e32 v2, 0
	v_lshlrev_b64 v[2:3], 1, v[1:2]
	s_delay_alu instid0(VALU_DEP_1) | instskip(NEXT) | instid1(VALU_DEP_2)
	v_add_co_u32 v2, vcc_lo, s4, v2
	v_add_co_ci_u32_e32 v3, vcc_lo, s5, v3, vcc_lo
	global_load_u16 v4, v[2:3], off
	v_mbcnt_lo_u32_b32 v3, -1, 0
	s_delay_alu instid0(VALU_DEP_1) | instskip(NEXT) | instid1(VALU_DEP_1)
	v_and_b32_e32 v2, 7, v3
	v_cmp_ne_u32_e32 vcc_lo, 7, v2
	v_add_nc_u32_e32 v7, 1, v2
	v_add_co_ci_u32_e32 v6, vcc_lo, 0, v3, vcc_lo
	s_delay_alu instid0(VALU_DEP_1)
	v_lshlrev_b32_e32 v6, 2, v6
	s_waitcnt vmcnt(0)
	v_and_b32_e32 v5, 0xffff, v4
	ds_bpermute_b32 v6, v6, v5
	v_cmpx_gt_u32_e64 s0, v7
	s_cbranch_execz .LBB88_6
; %bb.1:
	v_lshlrev_b32_e32 v4, 16, v5
	s_waitcnt lgkmcnt(0)
	v_lshlrev_b32_e32 v5, 16, v6
	s_delay_alu instid0(VALU_DEP_1) | instskip(NEXT) | instid1(VALU_DEP_1)
	v_add_f32_e32 v4, v4, v5
	v_and_b32_e32 v5, 0x7f800000, v4
	s_delay_alu instid0(VALU_DEP_1) | instskip(SKIP_1) | instid1(SALU_CYCLE_1)
	v_cmp_ne_u32_e32 vcc_lo, 0x7f800000, v5
                                        ; implicit-def: $vgpr5
	s_and_saveexec_b32 s2, vcc_lo
	s_xor_b32 s2, exec_lo, s2
; %bb.2:
	v_bfe_u32 v5, v4, 16, 1
	s_delay_alu instid0(VALU_DEP_1)
	v_add3_u32 v5, v4, v5, 0x7fff
                                        ; implicit-def: $vgpr4
; %bb.3:
	s_and_not1_saveexec_b32 s2, s2
; %bb.4:
	v_and_b32_e32 v5, 0xffff, v4
	v_or_b32_e32 v6, 0x10000, v4
	s_delay_alu instid0(VALU_DEP_2) | instskip(NEXT) | instid1(VALU_DEP_2)
	v_cmp_eq_u32_e32 vcc_lo, 0, v5
	v_cndmask_b32_e32 v5, v6, v4, vcc_lo
; %bb.5:
	s_or_b32 exec_lo, exec_lo, s2
	s_delay_alu instid0(VALU_DEP_1) | instskip(NEXT) | instid1(VALU_DEP_1)
	v_lshrrev_b32_e32 v5, 16, v5
	v_mov_b32_e32 v4, v5
.LBB88_6:
	s_or_b32 exec_lo, exec_lo, s1
	v_cmp_gt_u32_e32 vcc_lo, 6, v2
	v_add_nc_u32_e32 v7, 2, v2
	s_mov_b32 s1, exec_lo
	s_waitcnt lgkmcnt(0)
	v_cndmask_b32_e64 v6, 0, 1, vcc_lo
	s_delay_alu instid0(VALU_DEP_1) | instskip(NEXT) | instid1(VALU_DEP_1)
	v_lshlrev_b32_e32 v6, 1, v6
	v_add_lshl_u32 v6, v6, v3, 2
	ds_bpermute_b32 v6, v6, v5
	v_cmpx_gt_u32_e64 s0, v7
	s_cbranch_execz .LBB88_12
; %bb.7:
	v_lshlrev_b32_e32 v4, 16, v5
	s_waitcnt lgkmcnt(0)
	v_lshlrev_b32_e32 v5, 16, v6
	s_delay_alu instid0(VALU_DEP_1) | instskip(NEXT) | instid1(VALU_DEP_1)
	v_add_f32_e32 v4, v4, v5
	v_and_b32_e32 v5, 0x7f800000, v4
	s_delay_alu instid0(VALU_DEP_1) | instskip(SKIP_1) | instid1(SALU_CYCLE_1)
	v_cmp_ne_u32_e32 vcc_lo, 0x7f800000, v5
                                        ; implicit-def: $vgpr5
	s_and_saveexec_b32 s2, vcc_lo
	s_xor_b32 s2, exec_lo, s2
; %bb.8:
	v_bfe_u32 v5, v4, 16, 1
	s_delay_alu instid0(VALU_DEP_1)
	v_add3_u32 v5, v4, v5, 0x7fff
                                        ; implicit-def: $vgpr4
; %bb.9:
	s_and_not1_saveexec_b32 s2, s2
; %bb.10:
	v_and_b32_e32 v5, 0xffff, v4
	v_or_b32_e32 v6, 0x10000, v4
	s_delay_alu instid0(VALU_DEP_2) | instskip(NEXT) | instid1(VALU_DEP_2)
	v_cmp_eq_u32_e32 vcc_lo, 0, v5
	v_cndmask_b32_e32 v5, v6, v4, vcc_lo
; %bb.11:
	s_or_b32 exec_lo, exec_lo, s2
	s_delay_alu instid0(VALU_DEP_1) | instskip(NEXT) | instid1(VALU_DEP_1)
	v_lshrrev_b32_e32 v5, 16, v5
	v_mov_b32_e32 v4, v5
.LBB88_12:
	s_or_b32 exec_lo, exec_lo, s1
	v_cmp_gt_u32_e32 vcc_lo, 4, v2
	v_add_nc_u32_e32 v2, 4, v2
	s_waitcnt lgkmcnt(0)
	v_cndmask_b32_e64 v6, 0, 1, vcc_lo
	s_delay_alu instid0(VALU_DEP_2) | instskip(NEXT) | instid1(VALU_DEP_2)
	v_cmp_gt_u32_e32 vcc_lo, s0, v2
	v_lshlrev_b32_e32 v6, 2, v6
	s_delay_alu instid0(VALU_DEP_1)
	v_add_lshl_u32 v3, v6, v3, 2
	ds_bpermute_b32 v3, v3, v5
	s_and_saveexec_b32 s0, vcc_lo
	s_cbranch_execz .LBB88_18
; %bb.13:
	v_lshlrev_b32_e32 v2, 16, v5
	s_waitcnt lgkmcnt(0)
	v_lshlrev_b32_e32 v3, 16, v3
	s_delay_alu instid0(VALU_DEP_1) | instskip(NEXT) | instid1(VALU_DEP_1)
	v_add_f32_e32 v2, v2, v3
	v_and_b32_e32 v3, 0x7f800000, v2
	s_delay_alu instid0(VALU_DEP_1) | instskip(SKIP_1) | instid1(SALU_CYCLE_1)
	v_cmp_ne_u32_e32 vcc_lo, 0x7f800000, v3
                                        ; implicit-def: $vgpr3
	s_and_saveexec_b32 s1, vcc_lo
	s_xor_b32 s1, exec_lo, s1
; %bb.14:
	v_bfe_u32 v3, v2, 16, 1
	s_delay_alu instid0(VALU_DEP_1)
	v_add3_u32 v3, v2, v3, 0x7fff
                                        ; implicit-def: $vgpr2
; %bb.15:
	s_and_not1_saveexec_b32 s1, s1
; %bb.16:
	v_and_b32_e32 v3, 0xffff, v2
	v_or_b32_e32 v4, 0x10000, v2
	s_delay_alu instid0(VALU_DEP_2) | instskip(NEXT) | instid1(VALU_DEP_2)
	v_cmp_eq_u32_e32 vcc_lo, 0, v3
	v_cndmask_b32_e32 v3, v4, v2, vcc_lo
; %bb.17:
	s_or_b32 exec_lo, exec_lo, s1
	s_delay_alu instid0(VALU_DEP_1)
	v_lshrrev_b32_e32 v4, 16, v3
.LBB88_18:
	s_or_b32 exec_lo, exec_lo, s0
	v_and_b32_e32 v0, 7, v0
	s_mov_b32 s0, exec_lo
	s_delay_alu instid0(VALU_DEP_1)
	v_cmpx_eq_u32_e32 0, v0
	s_cbranch_execz .LBB88_20
; %bb.19:
	v_lshrrev_b32_e32 v0, 2, v1
	s_delay_alu instid0(VALU_DEP_1)
	v_and_b32_e32 v0, 0x3ffffffe, v0
	global_store_b16 v0, v4, s[6:7]
.LBB88_20:
	s_nop 0
	s_sendmsg sendmsg(MSG_DEALLOC_VGPRS)
	s_endpgm
	.section	.rodata,"a",@progbits
	.p2align	6, 0x0
	.amdhsa_kernel _Z24warp_reduce_valid_kernelI12hip_bfloat16Lj64ELj8EENSt9enable_ifIXsr10test_utilsE35device_test_enabled_for_warp_size_vIXT1_EEEvE4typeEPT_S5_i
		.amdhsa_group_segment_fixed_size 0
		.amdhsa_private_segment_fixed_size 0
		.amdhsa_kernarg_size 280
		.amdhsa_user_sgpr_count 15
		.amdhsa_user_sgpr_dispatch_ptr 0
		.amdhsa_user_sgpr_queue_ptr 0
		.amdhsa_user_sgpr_kernarg_segment_ptr 1
		.amdhsa_user_sgpr_dispatch_id 0
		.amdhsa_user_sgpr_private_segment_size 0
		.amdhsa_wavefront_size32 1
		.amdhsa_uses_dynamic_stack 0
		.amdhsa_enable_private_segment 0
		.amdhsa_system_sgpr_workgroup_id_x 1
		.amdhsa_system_sgpr_workgroup_id_y 0
		.amdhsa_system_sgpr_workgroup_id_z 0
		.amdhsa_system_sgpr_workgroup_info 0
		.amdhsa_system_vgpr_workitem_id 0
		.amdhsa_next_free_vgpr 8
		.amdhsa_next_free_sgpr 16
		.amdhsa_reserve_vcc 1
		.amdhsa_float_round_mode_32 0
		.amdhsa_float_round_mode_16_64 0
		.amdhsa_float_denorm_mode_32 3
		.amdhsa_float_denorm_mode_16_64 3
		.amdhsa_dx10_clamp 1
		.amdhsa_ieee_mode 1
		.amdhsa_fp16_overflow 0
		.amdhsa_workgroup_processor_mode 1
		.amdhsa_memory_ordered 1
		.amdhsa_forward_progress 0
		.amdhsa_shared_vgpr_count 0
		.amdhsa_exception_fp_ieee_invalid_op 0
		.amdhsa_exception_fp_denorm_src 0
		.amdhsa_exception_fp_ieee_div_zero 0
		.amdhsa_exception_fp_ieee_overflow 0
		.amdhsa_exception_fp_ieee_underflow 0
		.amdhsa_exception_fp_ieee_inexact 0
		.amdhsa_exception_int_div_zero 0
	.end_amdhsa_kernel
	.section	.text._Z24warp_reduce_valid_kernelI12hip_bfloat16Lj64ELj8EENSt9enable_ifIXsr10test_utilsE35device_test_enabled_for_warp_size_vIXT1_EEEvE4typeEPT_S5_i,"axG",@progbits,_Z24warp_reduce_valid_kernelI12hip_bfloat16Lj64ELj8EENSt9enable_ifIXsr10test_utilsE35device_test_enabled_for_warp_size_vIXT1_EEEvE4typeEPT_S5_i,comdat
.Lfunc_end88:
	.size	_Z24warp_reduce_valid_kernelI12hip_bfloat16Lj64ELj8EENSt9enable_ifIXsr10test_utilsE35device_test_enabled_for_warp_size_vIXT1_EEEvE4typeEPT_S5_i, .Lfunc_end88-_Z24warp_reduce_valid_kernelI12hip_bfloat16Lj64ELj8EENSt9enable_ifIXsr10test_utilsE35device_test_enabled_for_warp_size_vIXT1_EEEvE4typeEPT_S5_i
                                        ; -- End function
	.section	.AMDGPU.csdata,"",@progbits
; Kernel info:
; codeLenInByte = 704
; NumSgprs: 18
; NumVgprs: 8
; ScratchSize: 0
; MemoryBound: 0
; FloatMode: 240
; IeeeMode: 1
; LDSByteSize: 0 bytes/workgroup (compile time only)
; SGPRBlocks: 2
; VGPRBlocks: 0
; NumSGPRsForWavesPerEU: 18
; NumVGPRsForWavesPerEU: 8
; Occupancy: 16
; WaveLimiterHint : 0
; COMPUTE_PGM_RSRC2:SCRATCH_EN: 0
; COMPUTE_PGM_RSRC2:USER_SGPR: 15
; COMPUTE_PGM_RSRC2:TRAP_HANDLER: 0
; COMPUTE_PGM_RSRC2:TGID_X_EN: 1
; COMPUTE_PGM_RSRC2:TGID_Y_EN: 0
; COMPUTE_PGM_RSRC2:TGID_Z_EN: 0
; COMPUTE_PGM_RSRC2:TIDIG_COMP_CNT: 0
	.section	.text._Z24warp_reduce_valid_kernelI12hip_bfloat16Lj32ELj4EENSt9enable_ifIXsr10test_utilsE35device_test_enabled_for_warp_size_vIXT1_EEEvE4typeEPT_S5_i,"axG",@progbits,_Z24warp_reduce_valid_kernelI12hip_bfloat16Lj32ELj4EENSt9enable_ifIXsr10test_utilsE35device_test_enabled_for_warp_size_vIXT1_EEEvE4typeEPT_S5_i,comdat
	.protected	_Z24warp_reduce_valid_kernelI12hip_bfloat16Lj32ELj4EENSt9enable_ifIXsr10test_utilsE35device_test_enabled_for_warp_size_vIXT1_EEEvE4typeEPT_S5_i ; -- Begin function _Z24warp_reduce_valid_kernelI12hip_bfloat16Lj32ELj4EENSt9enable_ifIXsr10test_utilsE35device_test_enabled_for_warp_size_vIXT1_EEEvE4typeEPT_S5_i
	.globl	_Z24warp_reduce_valid_kernelI12hip_bfloat16Lj32ELj4EENSt9enable_ifIXsr10test_utilsE35device_test_enabled_for_warp_size_vIXT1_EEEvE4typeEPT_S5_i
	.p2align	8
	.type	_Z24warp_reduce_valid_kernelI12hip_bfloat16Lj32ELj4EENSt9enable_ifIXsr10test_utilsE35device_test_enabled_for_warp_size_vIXT1_EEEvE4typeEPT_S5_i,@function
_Z24warp_reduce_valid_kernelI12hip_bfloat16Lj32ELj4EENSt9enable_ifIXsr10test_utilsE35device_test_enabled_for_warp_size_vIXT1_EEEvE4typeEPT_S5_i: ; @_Z24warp_reduce_valid_kernelI12hip_bfloat16Lj32ELj4EENSt9enable_ifIXsr10test_utilsE35device_test_enabled_for_warp_size_vIXT1_EEEvE4typeEPT_S5_i
; %bb.0:
	s_clause 0x2
	s_load_b32 s2, s[0:1], 0x24
	s_load_b128 s[4:7], s[0:1], 0x0
	s_load_b32 s0, s[0:1], 0x10
	s_mov_b32 s1, exec_lo
	s_waitcnt lgkmcnt(0)
	s_and_b32 s2, s2, 0xffff
	s_delay_alu instid0(SALU_CYCLE_1) | instskip(SKIP_1) | instid1(VALU_DEP_1)
	v_mad_u64_u32 v[1:2], null, s15, s2, v[0:1]
	v_mov_b32_e32 v2, 0
	v_lshlrev_b64 v[2:3], 1, v[1:2]
	s_delay_alu instid0(VALU_DEP_1) | instskip(NEXT) | instid1(VALU_DEP_2)
	v_add_co_u32 v2, vcc_lo, s4, v2
	v_add_co_ci_u32_e32 v3, vcc_lo, s5, v3, vcc_lo
	global_load_u16 v4, v[2:3], off
	v_mbcnt_lo_u32_b32 v3, -1, 0
	s_delay_alu instid0(VALU_DEP_1) | instskip(NEXT) | instid1(VALU_DEP_1)
	v_and_b32_e32 v2, 3, v3
	v_cmp_ne_u32_e32 vcc_lo, 3, v2
	v_add_nc_u32_e32 v7, 1, v2
	v_add_co_ci_u32_e32 v6, vcc_lo, 0, v3, vcc_lo
	s_delay_alu instid0(VALU_DEP_1)
	v_lshlrev_b32_e32 v6, 2, v6
	s_waitcnt vmcnt(0)
	v_and_b32_e32 v5, 0xffff, v4
	ds_bpermute_b32 v6, v6, v5
	v_cmpx_gt_u32_e64 s0, v7
	s_cbranch_execz .LBB89_6
; %bb.1:
	v_lshlrev_b32_e32 v4, 16, v5
	s_waitcnt lgkmcnt(0)
	v_lshlrev_b32_e32 v5, 16, v6
	s_delay_alu instid0(VALU_DEP_1) | instskip(NEXT) | instid1(VALU_DEP_1)
	v_add_f32_e32 v4, v4, v5
	v_and_b32_e32 v5, 0x7f800000, v4
	s_delay_alu instid0(VALU_DEP_1) | instskip(SKIP_1) | instid1(SALU_CYCLE_1)
	v_cmp_ne_u32_e32 vcc_lo, 0x7f800000, v5
                                        ; implicit-def: $vgpr5
	s_and_saveexec_b32 s2, vcc_lo
	s_xor_b32 s2, exec_lo, s2
; %bb.2:
	v_bfe_u32 v5, v4, 16, 1
	s_delay_alu instid0(VALU_DEP_1)
	v_add3_u32 v5, v4, v5, 0x7fff
                                        ; implicit-def: $vgpr4
; %bb.3:
	s_and_not1_saveexec_b32 s2, s2
; %bb.4:
	v_and_b32_e32 v5, 0xffff, v4
	v_or_b32_e32 v6, 0x10000, v4
	s_delay_alu instid0(VALU_DEP_2) | instskip(NEXT) | instid1(VALU_DEP_2)
	v_cmp_eq_u32_e32 vcc_lo, 0, v5
	v_cndmask_b32_e32 v5, v6, v4, vcc_lo
; %bb.5:
	s_or_b32 exec_lo, exec_lo, s2
	s_delay_alu instid0(VALU_DEP_1) | instskip(NEXT) | instid1(VALU_DEP_1)
	v_lshrrev_b32_e32 v5, 16, v5
	v_mov_b32_e32 v4, v5
.LBB89_6:
	s_or_b32 exec_lo, exec_lo, s1
	v_cmp_gt_u32_e32 vcc_lo, 2, v2
	v_add_nc_u32_e32 v2, 2, v2
	s_waitcnt lgkmcnt(0)
	v_cndmask_b32_e64 v6, 0, 1, vcc_lo
	s_delay_alu instid0(VALU_DEP_2) | instskip(NEXT) | instid1(VALU_DEP_2)
	v_cmp_gt_u32_e32 vcc_lo, s0, v2
	v_lshlrev_b32_e32 v6, 1, v6
	s_delay_alu instid0(VALU_DEP_1)
	v_add_lshl_u32 v3, v6, v3, 2
	ds_bpermute_b32 v3, v3, v5
	s_and_saveexec_b32 s0, vcc_lo
	s_cbranch_execz .LBB89_12
; %bb.7:
	v_lshlrev_b32_e32 v2, 16, v5
	s_waitcnt lgkmcnt(0)
	v_lshlrev_b32_e32 v3, 16, v3
	s_delay_alu instid0(VALU_DEP_1) | instskip(NEXT) | instid1(VALU_DEP_1)
	v_add_f32_e32 v2, v2, v3
	v_and_b32_e32 v3, 0x7f800000, v2
	s_delay_alu instid0(VALU_DEP_1) | instskip(SKIP_1) | instid1(SALU_CYCLE_1)
	v_cmp_ne_u32_e32 vcc_lo, 0x7f800000, v3
                                        ; implicit-def: $vgpr3
	s_and_saveexec_b32 s1, vcc_lo
	s_xor_b32 s1, exec_lo, s1
; %bb.8:
	v_bfe_u32 v3, v2, 16, 1
	s_delay_alu instid0(VALU_DEP_1)
	v_add3_u32 v3, v2, v3, 0x7fff
                                        ; implicit-def: $vgpr2
; %bb.9:
	s_and_not1_saveexec_b32 s1, s1
; %bb.10:
	v_and_b32_e32 v3, 0xffff, v2
	v_or_b32_e32 v4, 0x10000, v2
	s_delay_alu instid0(VALU_DEP_2) | instskip(NEXT) | instid1(VALU_DEP_2)
	v_cmp_eq_u32_e32 vcc_lo, 0, v3
	v_cndmask_b32_e32 v3, v4, v2, vcc_lo
; %bb.11:
	s_or_b32 exec_lo, exec_lo, s1
	s_delay_alu instid0(VALU_DEP_1)
	v_lshrrev_b32_e32 v4, 16, v3
.LBB89_12:
	s_or_b32 exec_lo, exec_lo, s0
	v_and_b32_e32 v0, 3, v0
	s_mov_b32 s0, exec_lo
	s_delay_alu instid0(VALU_DEP_1)
	v_cmpx_eq_u32_e32 0, v0
	s_cbranch_execz .LBB89_14
; %bb.13:
	v_lshrrev_b32_e32 v0, 1, v1
	s_delay_alu instid0(VALU_DEP_1)
	v_and_b32_e32 v0, 0x7ffffffe, v0
	global_store_b16 v0, v4, s[6:7]
.LBB89_14:
	s_nop 0
	s_sendmsg sendmsg(MSG_DEALLOC_VGPRS)
	s_endpgm
	.section	.rodata,"a",@progbits
	.p2align	6, 0x0
	.amdhsa_kernel _Z24warp_reduce_valid_kernelI12hip_bfloat16Lj32ELj4EENSt9enable_ifIXsr10test_utilsE35device_test_enabled_for_warp_size_vIXT1_EEEvE4typeEPT_S5_i
		.amdhsa_group_segment_fixed_size 0
		.amdhsa_private_segment_fixed_size 0
		.amdhsa_kernarg_size 280
		.amdhsa_user_sgpr_count 15
		.amdhsa_user_sgpr_dispatch_ptr 0
		.amdhsa_user_sgpr_queue_ptr 0
		.amdhsa_user_sgpr_kernarg_segment_ptr 1
		.amdhsa_user_sgpr_dispatch_id 0
		.amdhsa_user_sgpr_private_segment_size 0
		.amdhsa_wavefront_size32 1
		.amdhsa_uses_dynamic_stack 0
		.amdhsa_enable_private_segment 0
		.amdhsa_system_sgpr_workgroup_id_x 1
		.amdhsa_system_sgpr_workgroup_id_y 0
		.amdhsa_system_sgpr_workgroup_id_z 0
		.amdhsa_system_sgpr_workgroup_info 0
		.amdhsa_system_vgpr_workitem_id 0
		.amdhsa_next_free_vgpr 8
		.amdhsa_next_free_sgpr 16
		.amdhsa_reserve_vcc 1
		.amdhsa_float_round_mode_32 0
		.amdhsa_float_round_mode_16_64 0
		.amdhsa_float_denorm_mode_32 3
		.amdhsa_float_denorm_mode_16_64 3
		.amdhsa_dx10_clamp 1
		.amdhsa_ieee_mode 1
		.amdhsa_fp16_overflow 0
		.amdhsa_workgroup_processor_mode 1
		.amdhsa_memory_ordered 1
		.amdhsa_forward_progress 0
		.amdhsa_shared_vgpr_count 0
		.amdhsa_exception_fp_ieee_invalid_op 0
		.amdhsa_exception_fp_denorm_src 0
		.amdhsa_exception_fp_ieee_div_zero 0
		.amdhsa_exception_fp_ieee_overflow 0
		.amdhsa_exception_fp_ieee_underflow 0
		.amdhsa_exception_fp_ieee_inexact 0
		.amdhsa_exception_int_div_zero 0
	.end_amdhsa_kernel
	.section	.text._Z24warp_reduce_valid_kernelI12hip_bfloat16Lj32ELj4EENSt9enable_ifIXsr10test_utilsE35device_test_enabled_for_warp_size_vIXT1_EEEvE4typeEPT_S5_i,"axG",@progbits,_Z24warp_reduce_valid_kernelI12hip_bfloat16Lj32ELj4EENSt9enable_ifIXsr10test_utilsE35device_test_enabled_for_warp_size_vIXT1_EEEvE4typeEPT_S5_i,comdat
.Lfunc_end89:
	.size	_Z24warp_reduce_valid_kernelI12hip_bfloat16Lj32ELj4EENSt9enable_ifIXsr10test_utilsE35device_test_enabled_for_warp_size_vIXT1_EEEvE4typeEPT_S5_i, .Lfunc_end89-_Z24warp_reduce_valid_kernelI12hip_bfloat16Lj32ELj4EENSt9enable_ifIXsr10test_utilsE35device_test_enabled_for_warp_size_vIXT1_EEEvE4typeEPT_S5_i
                                        ; -- End function
	.section	.AMDGPU.csdata,"",@progbits
; Kernel info:
; codeLenInByte = 520
; NumSgprs: 18
; NumVgprs: 8
; ScratchSize: 0
; MemoryBound: 0
; FloatMode: 240
; IeeeMode: 1
; LDSByteSize: 0 bytes/workgroup (compile time only)
; SGPRBlocks: 2
; VGPRBlocks: 0
; NumSGPRsForWavesPerEU: 18
; NumVGPRsForWavesPerEU: 8
; Occupancy: 16
; WaveLimiterHint : 0
; COMPUTE_PGM_RSRC2:SCRATCH_EN: 0
; COMPUTE_PGM_RSRC2:USER_SGPR: 15
; COMPUTE_PGM_RSRC2:TRAP_HANDLER: 0
; COMPUTE_PGM_RSRC2:TGID_X_EN: 1
; COMPUTE_PGM_RSRC2:TGID_Y_EN: 0
; COMPUTE_PGM_RSRC2:TGID_Z_EN: 0
; COMPUTE_PGM_RSRC2:TIDIG_COMP_CNT: 0
	.section	.text._Z24warp_reduce_valid_kernelI12hip_bfloat16Lj64ELj4EENSt9enable_ifIXsr10test_utilsE35device_test_enabled_for_warp_size_vIXT1_EEEvE4typeEPT_S5_i,"axG",@progbits,_Z24warp_reduce_valid_kernelI12hip_bfloat16Lj64ELj4EENSt9enable_ifIXsr10test_utilsE35device_test_enabled_for_warp_size_vIXT1_EEEvE4typeEPT_S5_i,comdat
	.protected	_Z24warp_reduce_valid_kernelI12hip_bfloat16Lj64ELj4EENSt9enable_ifIXsr10test_utilsE35device_test_enabled_for_warp_size_vIXT1_EEEvE4typeEPT_S5_i ; -- Begin function _Z24warp_reduce_valid_kernelI12hip_bfloat16Lj64ELj4EENSt9enable_ifIXsr10test_utilsE35device_test_enabled_for_warp_size_vIXT1_EEEvE4typeEPT_S5_i
	.globl	_Z24warp_reduce_valid_kernelI12hip_bfloat16Lj64ELj4EENSt9enable_ifIXsr10test_utilsE35device_test_enabled_for_warp_size_vIXT1_EEEvE4typeEPT_S5_i
	.p2align	8
	.type	_Z24warp_reduce_valid_kernelI12hip_bfloat16Lj64ELj4EENSt9enable_ifIXsr10test_utilsE35device_test_enabled_for_warp_size_vIXT1_EEEvE4typeEPT_S5_i,@function
_Z24warp_reduce_valid_kernelI12hip_bfloat16Lj64ELj4EENSt9enable_ifIXsr10test_utilsE35device_test_enabled_for_warp_size_vIXT1_EEEvE4typeEPT_S5_i: ; @_Z24warp_reduce_valid_kernelI12hip_bfloat16Lj64ELj4EENSt9enable_ifIXsr10test_utilsE35device_test_enabled_for_warp_size_vIXT1_EEEvE4typeEPT_S5_i
; %bb.0:
	s_clause 0x2
	s_load_b32 s2, s[0:1], 0x24
	s_load_b128 s[4:7], s[0:1], 0x0
	s_load_b32 s0, s[0:1], 0x10
	s_mov_b32 s1, exec_lo
	s_waitcnt lgkmcnt(0)
	s_and_b32 s2, s2, 0xffff
	s_delay_alu instid0(SALU_CYCLE_1) | instskip(SKIP_1) | instid1(VALU_DEP_1)
	v_mad_u64_u32 v[1:2], null, s15, s2, v[0:1]
	v_mov_b32_e32 v2, 0
	v_lshlrev_b64 v[2:3], 1, v[1:2]
	s_delay_alu instid0(VALU_DEP_1) | instskip(NEXT) | instid1(VALU_DEP_2)
	v_add_co_u32 v2, vcc_lo, s4, v2
	v_add_co_ci_u32_e32 v3, vcc_lo, s5, v3, vcc_lo
	global_load_u16 v4, v[2:3], off
	v_mbcnt_lo_u32_b32 v3, -1, 0
	s_delay_alu instid0(VALU_DEP_1) | instskip(NEXT) | instid1(VALU_DEP_1)
	v_and_b32_e32 v2, 3, v3
	v_cmp_ne_u32_e32 vcc_lo, 3, v2
	v_add_nc_u32_e32 v7, 1, v2
	v_add_co_ci_u32_e32 v6, vcc_lo, 0, v3, vcc_lo
	s_delay_alu instid0(VALU_DEP_1)
	v_lshlrev_b32_e32 v6, 2, v6
	s_waitcnt vmcnt(0)
	v_and_b32_e32 v5, 0xffff, v4
	ds_bpermute_b32 v6, v6, v5
	v_cmpx_gt_u32_e64 s0, v7
	s_cbranch_execz .LBB90_6
; %bb.1:
	v_lshlrev_b32_e32 v4, 16, v5
	s_waitcnt lgkmcnt(0)
	v_lshlrev_b32_e32 v5, 16, v6
	s_delay_alu instid0(VALU_DEP_1) | instskip(NEXT) | instid1(VALU_DEP_1)
	v_add_f32_e32 v4, v4, v5
	v_and_b32_e32 v5, 0x7f800000, v4
	s_delay_alu instid0(VALU_DEP_1) | instskip(SKIP_1) | instid1(SALU_CYCLE_1)
	v_cmp_ne_u32_e32 vcc_lo, 0x7f800000, v5
                                        ; implicit-def: $vgpr5
	s_and_saveexec_b32 s2, vcc_lo
	s_xor_b32 s2, exec_lo, s2
; %bb.2:
	v_bfe_u32 v5, v4, 16, 1
	s_delay_alu instid0(VALU_DEP_1)
	v_add3_u32 v5, v4, v5, 0x7fff
                                        ; implicit-def: $vgpr4
; %bb.3:
	s_and_not1_saveexec_b32 s2, s2
; %bb.4:
	v_and_b32_e32 v5, 0xffff, v4
	v_or_b32_e32 v6, 0x10000, v4
	s_delay_alu instid0(VALU_DEP_2) | instskip(NEXT) | instid1(VALU_DEP_2)
	v_cmp_eq_u32_e32 vcc_lo, 0, v5
	v_cndmask_b32_e32 v5, v6, v4, vcc_lo
; %bb.5:
	s_or_b32 exec_lo, exec_lo, s2
	s_delay_alu instid0(VALU_DEP_1) | instskip(NEXT) | instid1(VALU_DEP_1)
	v_lshrrev_b32_e32 v5, 16, v5
	v_mov_b32_e32 v4, v5
.LBB90_6:
	s_or_b32 exec_lo, exec_lo, s1
	v_cmp_gt_u32_e32 vcc_lo, 2, v2
	v_add_nc_u32_e32 v2, 2, v2
	s_waitcnt lgkmcnt(0)
	v_cndmask_b32_e64 v6, 0, 1, vcc_lo
	s_delay_alu instid0(VALU_DEP_2) | instskip(NEXT) | instid1(VALU_DEP_2)
	v_cmp_gt_u32_e32 vcc_lo, s0, v2
	v_lshlrev_b32_e32 v6, 1, v6
	s_delay_alu instid0(VALU_DEP_1)
	v_add_lshl_u32 v3, v6, v3, 2
	ds_bpermute_b32 v3, v3, v5
	s_and_saveexec_b32 s0, vcc_lo
	s_cbranch_execz .LBB90_12
; %bb.7:
	v_lshlrev_b32_e32 v2, 16, v5
	s_waitcnt lgkmcnt(0)
	v_lshlrev_b32_e32 v3, 16, v3
	s_delay_alu instid0(VALU_DEP_1) | instskip(NEXT) | instid1(VALU_DEP_1)
	v_add_f32_e32 v2, v2, v3
	v_and_b32_e32 v3, 0x7f800000, v2
	s_delay_alu instid0(VALU_DEP_1) | instskip(SKIP_1) | instid1(SALU_CYCLE_1)
	v_cmp_ne_u32_e32 vcc_lo, 0x7f800000, v3
                                        ; implicit-def: $vgpr3
	s_and_saveexec_b32 s1, vcc_lo
	s_xor_b32 s1, exec_lo, s1
; %bb.8:
	v_bfe_u32 v3, v2, 16, 1
	s_delay_alu instid0(VALU_DEP_1)
	v_add3_u32 v3, v2, v3, 0x7fff
                                        ; implicit-def: $vgpr2
; %bb.9:
	s_and_not1_saveexec_b32 s1, s1
; %bb.10:
	v_and_b32_e32 v3, 0xffff, v2
	v_or_b32_e32 v4, 0x10000, v2
	s_delay_alu instid0(VALU_DEP_2) | instskip(NEXT) | instid1(VALU_DEP_2)
	v_cmp_eq_u32_e32 vcc_lo, 0, v3
	v_cndmask_b32_e32 v3, v4, v2, vcc_lo
; %bb.11:
	s_or_b32 exec_lo, exec_lo, s1
	s_delay_alu instid0(VALU_DEP_1)
	v_lshrrev_b32_e32 v4, 16, v3
.LBB90_12:
	s_or_b32 exec_lo, exec_lo, s0
	v_and_b32_e32 v0, 3, v0
	s_mov_b32 s0, exec_lo
	s_delay_alu instid0(VALU_DEP_1)
	v_cmpx_eq_u32_e32 0, v0
	s_cbranch_execz .LBB90_14
; %bb.13:
	v_lshrrev_b32_e32 v0, 1, v1
	s_delay_alu instid0(VALU_DEP_1)
	v_and_b32_e32 v0, 0x7ffffffe, v0
	global_store_b16 v0, v4, s[6:7]
.LBB90_14:
	s_nop 0
	s_sendmsg sendmsg(MSG_DEALLOC_VGPRS)
	s_endpgm
	.section	.rodata,"a",@progbits
	.p2align	6, 0x0
	.amdhsa_kernel _Z24warp_reduce_valid_kernelI12hip_bfloat16Lj64ELj4EENSt9enable_ifIXsr10test_utilsE35device_test_enabled_for_warp_size_vIXT1_EEEvE4typeEPT_S5_i
		.amdhsa_group_segment_fixed_size 0
		.amdhsa_private_segment_fixed_size 0
		.amdhsa_kernarg_size 280
		.amdhsa_user_sgpr_count 15
		.amdhsa_user_sgpr_dispatch_ptr 0
		.amdhsa_user_sgpr_queue_ptr 0
		.amdhsa_user_sgpr_kernarg_segment_ptr 1
		.amdhsa_user_sgpr_dispatch_id 0
		.amdhsa_user_sgpr_private_segment_size 0
		.amdhsa_wavefront_size32 1
		.amdhsa_uses_dynamic_stack 0
		.amdhsa_enable_private_segment 0
		.amdhsa_system_sgpr_workgroup_id_x 1
		.amdhsa_system_sgpr_workgroup_id_y 0
		.amdhsa_system_sgpr_workgroup_id_z 0
		.amdhsa_system_sgpr_workgroup_info 0
		.amdhsa_system_vgpr_workitem_id 0
		.amdhsa_next_free_vgpr 8
		.amdhsa_next_free_sgpr 16
		.amdhsa_reserve_vcc 1
		.amdhsa_float_round_mode_32 0
		.amdhsa_float_round_mode_16_64 0
		.amdhsa_float_denorm_mode_32 3
		.amdhsa_float_denorm_mode_16_64 3
		.amdhsa_dx10_clamp 1
		.amdhsa_ieee_mode 1
		.amdhsa_fp16_overflow 0
		.amdhsa_workgroup_processor_mode 1
		.amdhsa_memory_ordered 1
		.amdhsa_forward_progress 0
		.amdhsa_shared_vgpr_count 0
		.amdhsa_exception_fp_ieee_invalid_op 0
		.amdhsa_exception_fp_denorm_src 0
		.amdhsa_exception_fp_ieee_div_zero 0
		.amdhsa_exception_fp_ieee_overflow 0
		.amdhsa_exception_fp_ieee_underflow 0
		.amdhsa_exception_fp_ieee_inexact 0
		.amdhsa_exception_int_div_zero 0
	.end_amdhsa_kernel
	.section	.text._Z24warp_reduce_valid_kernelI12hip_bfloat16Lj64ELj4EENSt9enable_ifIXsr10test_utilsE35device_test_enabled_for_warp_size_vIXT1_EEEvE4typeEPT_S5_i,"axG",@progbits,_Z24warp_reduce_valid_kernelI12hip_bfloat16Lj64ELj4EENSt9enable_ifIXsr10test_utilsE35device_test_enabled_for_warp_size_vIXT1_EEEvE4typeEPT_S5_i,comdat
.Lfunc_end90:
	.size	_Z24warp_reduce_valid_kernelI12hip_bfloat16Lj64ELj4EENSt9enable_ifIXsr10test_utilsE35device_test_enabled_for_warp_size_vIXT1_EEEvE4typeEPT_S5_i, .Lfunc_end90-_Z24warp_reduce_valid_kernelI12hip_bfloat16Lj64ELj4EENSt9enable_ifIXsr10test_utilsE35device_test_enabled_for_warp_size_vIXT1_EEEvE4typeEPT_S5_i
                                        ; -- End function
	.section	.AMDGPU.csdata,"",@progbits
; Kernel info:
; codeLenInByte = 520
; NumSgprs: 18
; NumVgprs: 8
; ScratchSize: 0
; MemoryBound: 0
; FloatMode: 240
; IeeeMode: 1
; LDSByteSize: 0 bytes/workgroup (compile time only)
; SGPRBlocks: 2
; VGPRBlocks: 0
; NumSGPRsForWavesPerEU: 18
; NumVGPRsForWavesPerEU: 8
; Occupancy: 16
; WaveLimiterHint : 0
; COMPUTE_PGM_RSRC2:SCRATCH_EN: 0
; COMPUTE_PGM_RSRC2:USER_SGPR: 15
; COMPUTE_PGM_RSRC2:TRAP_HANDLER: 0
; COMPUTE_PGM_RSRC2:TGID_X_EN: 1
; COMPUTE_PGM_RSRC2:TGID_Y_EN: 0
; COMPUTE_PGM_RSRC2:TGID_Z_EN: 0
; COMPUTE_PGM_RSRC2:TIDIG_COMP_CNT: 0
	.section	.text._Z24warp_reduce_valid_kernelI12hip_bfloat16Lj32ELj2EENSt9enable_ifIXsr10test_utilsE35device_test_enabled_for_warp_size_vIXT1_EEEvE4typeEPT_S5_i,"axG",@progbits,_Z24warp_reduce_valid_kernelI12hip_bfloat16Lj32ELj2EENSt9enable_ifIXsr10test_utilsE35device_test_enabled_for_warp_size_vIXT1_EEEvE4typeEPT_S5_i,comdat
	.protected	_Z24warp_reduce_valid_kernelI12hip_bfloat16Lj32ELj2EENSt9enable_ifIXsr10test_utilsE35device_test_enabled_for_warp_size_vIXT1_EEEvE4typeEPT_S5_i ; -- Begin function _Z24warp_reduce_valid_kernelI12hip_bfloat16Lj32ELj2EENSt9enable_ifIXsr10test_utilsE35device_test_enabled_for_warp_size_vIXT1_EEEvE4typeEPT_S5_i
	.globl	_Z24warp_reduce_valid_kernelI12hip_bfloat16Lj32ELj2EENSt9enable_ifIXsr10test_utilsE35device_test_enabled_for_warp_size_vIXT1_EEEvE4typeEPT_S5_i
	.p2align	8
	.type	_Z24warp_reduce_valid_kernelI12hip_bfloat16Lj32ELj2EENSt9enable_ifIXsr10test_utilsE35device_test_enabled_for_warp_size_vIXT1_EEEvE4typeEPT_S5_i,@function
_Z24warp_reduce_valid_kernelI12hip_bfloat16Lj32ELj2EENSt9enable_ifIXsr10test_utilsE35device_test_enabled_for_warp_size_vIXT1_EEEvE4typeEPT_S5_i: ; @_Z24warp_reduce_valid_kernelI12hip_bfloat16Lj32ELj2EENSt9enable_ifIXsr10test_utilsE35device_test_enabled_for_warp_size_vIXT1_EEEvE4typeEPT_S5_i
; %bb.0:
	s_clause 0x1
	s_load_b32 s2, s[0:1], 0x24
	s_load_b128 s[4:7], s[0:1], 0x0
	v_mbcnt_lo_u32_b32 v5, -1, 0
	s_load_b32 s0, s[0:1], 0x10
	s_delay_alu instid0(VALU_DEP_1) | instskip(SKIP_1) | instid1(VALU_DEP_1)
	v_lshl_or_b32 v4, v5, 2, 4
	v_and_b32_e32 v5, 1, v5
	v_add_nc_u32_e32 v5, 1, v5
	s_waitcnt lgkmcnt(0)
	s_and_b32 s2, s2, 0xffff
	s_delay_alu instid0(SALU_CYCLE_1) | instskip(SKIP_1) | instid1(VALU_DEP_1)
	v_mad_u64_u32 v[1:2], null, s15, s2, v[0:1]
	v_mov_b32_e32 v2, 0
	v_lshlrev_b64 v[2:3], 1, v[1:2]
	s_delay_alu instid0(VALU_DEP_1) | instskip(NEXT) | instid1(VALU_DEP_2)
	v_add_co_u32 v2, vcc_lo, s4, v2
	v_add_co_ci_u32_e32 v3, vcc_lo, s5, v3, vcc_lo
	v_cmp_gt_u32_e32 vcc_lo, s0, v5
	global_load_u16 v2, v[2:3], off
	s_waitcnt vmcnt(0)
	v_and_b32_e32 v3, 0xffff, v2
	ds_bpermute_b32 v4, v4, v3
	s_and_saveexec_b32 s0, vcc_lo
	s_cbranch_execz .LBB91_6
; %bb.1:
	v_lshlrev_b32_e32 v2, 16, v3
	s_waitcnt lgkmcnt(0)
	v_lshlrev_b32_e32 v3, 16, v4
	s_delay_alu instid0(VALU_DEP_1) | instskip(NEXT) | instid1(VALU_DEP_1)
	v_add_f32_e32 v2, v2, v3
	v_and_b32_e32 v3, 0x7f800000, v2
	s_delay_alu instid0(VALU_DEP_1) | instskip(SKIP_1) | instid1(SALU_CYCLE_1)
	v_cmp_ne_u32_e32 vcc_lo, 0x7f800000, v3
                                        ; implicit-def: $vgpr3
	s_and_saveexec_b32 s1, vcc_lo
	s_xor_b32 s1, exec_lo, s1
; %bb.2:
	v_bfe_u32 v3, v2, 16, 1
	s_delay_alu instid0(VALU_DEP_1)
	v_add3_u32 v3, v2, v3, 0x7fff
                                        ; implicit-def: $vgpr2
; %bb.3:
	s_and_not1_saveexec_b32 s1, s1
; %bb.4:
	v_and_b32_e32 v3, 0xffff, v2
	v_or_b32_e32 v4, 0x10000, v2
	s_delay_alu instid0(VALU_DEP_2) | instskip(NEXT) | instid1(VALU_DEP_2)
	v_cmp_eq_u32_e32 vcc_lo, 0, v3
	v_cndmask_b32_e32 v3, v4, v2, vcc_lo
; %bb.5:
	s_or_b32 exec_lo, exec_lo, s1
	s_delay_alu instid0(VALU_DEP_1)
	v_lshrrev_b32_e32 v2, 16, v3
.LBB91_6:
	s_or_b32 exec_lo, exec_lo, s0
	v_and_b32_e32 v0, 1, v0
	s_mov_b32 s0, exec_lo
	s_delay_alu instid0(VALU_DEP_1)
	v_cmpx_eq_u32_e32 0, v0
	s_cbranch_execz .LBB91_8
; %bb.7:
	v_and_b32_e32 v0, -2, v1
	global_store_b16 v0, v2, s[6:7]
.LBB91_8:
	s_nop 0
	s_sendmsg sendmsg(MSG_DEALLOC_VGPRS)
	s_endpgm
	.section	.rodata,"a",@progbits
	.p2align	6, 0x0
	.amdhsa_kernel _Z24warp_reduce_valid_kernelI12hip_bfloat16Lj32ELj2EENSt9enable_ifIXsr10test_utilsE35device_test_enabled_for_warp_size_vIXT1_EEEvE4typeEPT_S5_i
		.amdhsa_group_segment_fixed_size 0
		.amdhsa_private_segment_fixed_size 0
		.amdhsa_kernarg_size 280
		.amdhsa_user_sgpr_count 15
		.amdhsa_user_sgpr_dispatch_ptr 0
		.amdhsa_user_sgpr_queue_ptr 0
		.amdhsa_user_sgpr_kernarg_segment_ptr 1
		.amdhsa_user_sgpr_dispatch_id 0
		.amdhsa_user_sgpr_private_segment_size 0
		.amdhsa_wavefront_size32 1
		.amdhsa_uses_dynamic_stack 0
		.amdhsa_enable_private_segment 0
		.amdhsa_system_sgpr_workgroup_id_x 1
		.amdhsa_system_sgpr_workgroup_id_y 0
		.amdhsa_system_sgpr_workgroup_id_z 0
		.amdhsa_system_sgpr_workgroup_info 0
		.amdhsa_system_vgpr_workitem_id 0
		.amdhsa_next_free_vgpr 6
		.amdhsa_next_free_sgpr 16
		.amdhsa_reserve_vcc 1
		.amdhsa_float_round_mode_32 0
		.amdhsa_float_round_mode_16_64 0
		.amdhsa_float_denorm_mode_32 3
		.amdhsa_float_denorm_mode_16_64 3
		.amdhsa_dx10_clamp 1
		.amdhsa_ieee_mode 1
		.amdhsa_fp16_overflow 0
		.amdhsa_workgroup_processor_mode 1
		.amdhsa_memory_ordered 1
		.amdhsa_forward_progress 0
		.amdhsa_shared_vgpr_count 0
		.amdhsa_exception_fp_ieee_invalid_op 0
		.amdhsa_exception_fp_denorm_src 0
		.amdhsa_exception_fp_ieee_div_zero 0
		.amdhsa_exception_fp_ieee_overflow 0
		.amdhsa_exception_fp_ieee_underflow 0
		.amdhsa_exception_fp_ieee_inexact 0
		.amdhsa_exception_int_div_zero 0
	.end_amdhsa_kernel
	.section	.text._Z24warp_reduce_valid_kernelI12hip_bfloat16Lj32ELj2EENSt9enable_ifIXsr10test_utilsE35device_test_enabled_for_warp_size_vIXT1_EEEvE4typeEPT_S5_i,"axG",@progbits,_Z24warp_reduce_valid_kernelI12hip_bfloat16Lj32ELj2EENSt9enable_ifIXsr10test_utilsE35device_test_enabled_for_warp_size_vIXT1_EEEvE4typeEPT_S5_i,comdat
.Lfunc_end91:
	.size	_Z24warp_reduce_valid_kernelI12hip_bfloat16Lj32ELj2EENSt9enable_ifIXsr10test_utilsE35device_test_enabled_for_warp_size_vIXT1_EEEvE4typeEPT_S5_i, .Lfunc_end91-_Z24warp_reduce_valid_kernelI12hip_bfloat16Lj32ELj2EENSt9enable_ifIXsr10test_utilsE35device_test_enabled_for_warp_size_vIXT1_EEEvE4typeEPT_S5_i
                                        ; -- End function
	.section	.AMDGPU.csdata,"",@progbits
; Kernel info:
; codeLenInByte = 312
; NumSgprs: 18
; NumVgprs: 6
; ScratchSize: 0
; MemoryBound: 0
; FloatMode: 240
; IeeeMode: 1
; LDSByteSize: 0 bytes/workgroup (compile time only)
; SGPRBlocks: 2
; VGPRBlocks: 0
; NumSGPRsForWavesPerEU: 18
; NumVGPRsForWavesPerEU: 6
; Occupancy: 16
; WaveLimiterHint : 0
; COMPUTE_PGM_RSRC2:SCRATCH_EN: 0
; COMPUTE_PGM_RSRC2:USER_SGPR: 15
; COMPUTE_PGM_RSRC2:TRAP_HANDLER: 0
; COMPUTE_PGM_RSRC2:TGID_X_EN: 1
; COMPUTE_PGM_RSRC2:TGID_Y_EN: 0
; COMPUTE_PGM_RSRC2:TGID_Z_EN: 0
; COMPUTE_PGM_RSRC2:TIDIG_COMP_CNT: 0
	.section	.text._Z24warp_reduce_valid_kernelI12hip_bfloat16Lj64ELj2EENSt9enable_ifIXsr10test_utilsE35device_test_enabled_for_warp_size_vIXT1_EEEvE4typeEPT_S5_i,"axG",@progbits,_Z24warp_reduce_valid_kernelI12hip_bfloat16Lj64ELj2EENSt9enable_ifIXsr10test_utilsE35device_test_enabled_for_warp_size_vIXT1_EEEvE4typeEPT_S5_i,comdat
	.protected	_Z24warp_reduce_valid_kernelI12hip_bfloat16Lj64ELj2EENSt9enable_ifIXsr10test_utilsE35device_test_enabled_for_warp_size_vIXT1_EEEvE4typeEPT_S5_i ; -- Begin function _Z24warp_reduce_valid_kernelI12hip_bfloat16Lj64ELj2EENSt9enable_ifIXsr10test_utilsE35device_test_enabled_for_warp_size_vIXT1_EEEvE4typeEPT_S5_i
	.globl	_Z24warp_reduce_valid_kernelI12hip_bfloat16Lj64ELj2EENSt9enable_ifIXsr10test_utilsE35device_test_enabled_for_warp_size_vIXT1_EEEvE4typeEPT_S5_i
	.p2align	8
	.type	_Z24warp_reduce_valid_kernelI12hip_bfloat16Lj64ELj2EENSt9enable_ifIXsr10test_utilsE35device_test_enabled_for_warp_size_vIXT1_EEEvE4typeEPT_S5_i,@function
_Z24warp_reduce_valid_kernelI12hip_bfloat16Lj64ELj2EENSt9enable_ifIXsr10test_utilsE35device_test_enabled_for_warp_size_vIXT1_EEEvE4typeEPT_S5_i: ; @_Z24warp_reduce_valid_kernelI12hip_bfloat16Lj64ELj2EENSt9enable_ifIXsr10test_utilsE35device_test_enabled_for_warp_size_vIXT1_EEEvE4typeEPT_S5_i
; %bb.0:
	s_clause 0x1
	s_load_b32 s2, s[0:1], 0x24
	s_load_b128 s[4:7], s[0:1], 0x0
	v_mbcnt_lo_u32_b32 v5, -1, 0
	s_load_b32 s0, s[0:1], 0x10
	s_delay_alu instid0(VALU_DEP_1) | instskip(SKIP_1) | instid1(VALU_DEP_1)
	v_lshl_or_b32 v4, v5, 2, 4
	v_and_b32_e32 v5, 1, v5
	v_add_nc_u32_e32 v5, 1, v5
	s_waitcnt lgkmcnt(0)
	s_and_b32 s2, s2, 0xffff
	s_delay_alu instid0(SALU_CYCLE_1) | instskip(SKIP_1) | instid1(VALU_DEP_1)
	v_mad_u64_u32 v[1:2], null, s15, s2, v[0:1]
	v_mov_b32_e32 v2, 0
	v_lshlrev_b64 v[2:3], 1, v[1:2]
	s_delay_alu instid0(VALU_DEP_1) | instskip(NEXT) | instid1(VALU_DEP_2)
	v_add_co_u32 v2, vcc_lo, s4, v2
	v_add_co_ci_u32_e32 v3, vcc_lo, s5, v3, vcc_lo
	v_cmp_gt_u32_e32 vcc_lo, s0, v5
	global_load_u16 v2, v[2:3], off
	s_waitcnt vmcnt(0)
	v_and_b32_e32 v3, 0xffff, v2
	ds_bpermute_b32 v4, v4, v3
	s_and_saveexec_b32 s0, vcc_lo
	s_cbranch_execz .LBB92_6
; %bb.1:
	v_lshlrev_b32_e32 v2, 16, v3
	s_waitcnt lgkmcnt(0)
	v_lshlrev_b32_e32 v3, 16, v4
	s_delay_alu instid0(VALU_DEP_1) | instskip(NEXT) | instid1(VALU_DEP_1)
	v_add_f32_e32 v2, v2, v3
	v_and_b32_e32 v3, 0x7f800000, v2
	s_delay_alu instid0(VALU_DEP_1) | instskip(SKIP_1) | instid1(SALU_CYCLE_1)
	v_cmp_ne_u32_e32 vcc_lo, 0x7f800000, v3
                                        ; implicit-def: $vgpr3
	s_and_saveexec_b32 s1, vcc_lo
	s_xor_b32 s1, exec_lo, s1
; %bb.2:
	v_bfe_u32 v3, v2, 16, 1
	s_delay_alu instid0(VALU_DEP_1)
	v_add3_u32 v3, v2, v3, 0x7fff
                                        ; implicit-def: $vgpr2
; %bb.3:
	s_and_not1_saveexec_b32 s1, s1
; %bb.4:
	v_and_b32_e32 v3, 0xffff, v2
	v_or_b32_e32 v4, 0x10000, v2
	s_delay_alu instid0(VALU_DEP_2) | instskip(NEXT) | instid1(VALU_DEP_2)
	v_cmp_eq_u32_e32 vcc_lo, 0, v3
	v_cndmask_b32_e32 v3, v4, v2, vcc_lo
; %bb.5:
	s_or_b32 exec_lo, exec_lo, s1
	s_delay_alu instid0(VALU_DEP_1)
	v_lshrrev_b32_e32 v2, 16, v3
.LBB92_6:
	s_or_b32 exec_lo, exec_lo, s0
	v_and_b32_e32 v0, 1, v0
	s_mov_b32 s0, exec_lo
	s_delay_alu instid0(VALU_DEP_1)
	v_cmpx_eq_u32_e32 0, v0
	s_cbranch_execz .LBB92_8
; %bb.7:
	v_and_b32_e32 v0, -2, v1
	global_store_b16 v0, v2, s[6:7]
.LBB92_8:
	s_nop 0
	s_sendmsg sendmsg(MSG_DEALLOC_VGPRS)
	s_endpgm
	.section	.rodata,"a",@progbits
	.p2align	6, 0x0
	.amdhsa_kernel _Z24warp_reduce_valid_kernelI12hip_bfloat16Lj64ELj2EENSt9enable_ifIXsr10test_utilsE35device_test_enabled_for_warp_size_vIXT1_EEEvE4typeEPT_S5_i
		.amdhsa_group_segment_fixed_size 0
		.amdhsa_private_segment_fixed_size 0
		.amdhsa_kernarg_size 280
		.amdhsa_user_sgpr_count 15
		.amdhsa_user_sgpr_dispatch_ptr 0
		.amdhsa_user_sgpr_queue_ptr 0
		.amdhsa_user_sgpr_kernarg_segment_ptr 1
		.amdhsa_user_sgpr_dispatch_id 0
		.amdhsa_user_sgpr_private_segment_size 0
		.amdhsa_wavefront_size32 1
		.amdhsa_uses_dynamic_stack 0
		.amdhsa_enable_private_segment 0
		.amdhsa_system_sgpr_workgroup_id_x 1
		.amdhsa_system_sgpr_workgroup_id_y 0
		.amdhsa_system_sgpr_workgroup_id_z 0
		.amdhsa_system_sgpr_workgroup_info 0
		.amdhsa_system_vgpr_workitem_id 0
		.amdhsa_next_free_vgpr 6
		.amdhsa_next_free_sgpr 16
		.amdhsa_reserve_vcc 1
		.amdhsa_float_round_mode_32 0
		.amdhsa_float_round_mode_16_64 0
		.amdhsa_float_denorm_mode_32 3
		.amdhsa_float_denorm_mode_16_64 3
		.amdhsa_dx10_clamp 1
		.amdhsa_ieee_mode 1
		.amdhsa_fp16_overflow 0
		.amdhsa_workgroup_processor_mode 1
		.amdhsa_memory_ordered 1
		.amdhsa_forward_progress 0
		.amdhsa_shared_vgpr_count 0
		.amdhsa_exception_fp_ieee_invalid_op 0
		.amdhsa_exception_fp_denorm_src 0
		.amdhsa_exception_fp_ieee_div_zero 0
		.amdhsa_exception_fp_ieee_overflow 0
		.amdhsa_exception_fp_ieee_underflow 0
		.amdhsa_exception_fp_ieee_inexact 0
		.amdhsa_exception_int_div_zero 0
	.end_amdhsa_kernel
	.section	.text._Z24warp_reduce_valid_kernelI12hip_bfloat16Lj64ELj2EENSt9enable_ifIXsr10test_utilsE35device_test_enabled_for_warp_size_vIXT1_EEEvE4typeEPT_S5_i,"axG",@progbits,_Z24warp_reduce_valid_kernelI12hip_bfloat16Lj64ELj2EENSt9enable_ifIXsr10test_utilsE35device_test_enabled_for_warp_size_vIXT1_EEEvE4typeEPT_S5_i,comdat
.Lfunc_end92:
	.size	_Z24warp_reduce_valid_kernelI12hip_bfloat16Lj64ELj2EENSt9enable_ifIXsr10test_utilsE35device_test_enabled_for_warp_size_vIXT1_EEEvE4typeEPT_S5_i, .Lfunc_end92-_Z24warp_reduce_valid_kernelI12hip_bfloat16Lj64ELj2EENSt9enable_ifIXsr10test_utilsE35device_test_enabled_for_warp_size_vIXT1_EEEvE4typeEPT_S5_i
                                        ; -- End function
	.section	.AMDGPU.csdata,"",@progbits
; Kernel info:
; codeLenInByte = 312
; NumSgprs: 18
; NumVgprs: 6
; ScratchSize: 0
; MemoryBound: 0
; FloatMode: 240
; IeeeMode: 1
; LDSByteSize: 0 bytes/workgroup (compile time only)
; SGPRBlocks: 2
; VGPRBlocks: 0
; NumSGPRsForWavesPerEU: 18
; NumVGPRsForWavesPerEU: 6
; Occupancy: 16
; WaveLimiterHint : 0
; COMPUTE_PGM_RSRC2:SCRATCH_EN: 0
; COMPUTE_PGM_RSRC2:USER_SGPR: 15
; COMPUTE_PGM_RSRC2:TRAP_HANDLER: 0
; COMPUTE_PGM_RSRC2:TGID_X_EN: 1
; COMPUTE_PGM_RSRC2:TGID_Y_EN: 0
; COMPUTE_PGM_RSRC2:TGID_Z_EN: 0
; COMPUTE_PGM_RSRC2:TIDIG_COMP_CNT: 0
	.section	.text._Z24warp_reduce_valid_kernelI12hip_bfloat16Lj32ELj1EENSt9enable_ifIXsr10test_utilsE35device_test_enabled_for_warp_size_vIXT1_EEEvE4typeEPT_S5_i,"axG",@progbits,_Z24warp_reduce_valid_kernelI12hip_bfloat16Lj32ELj1EENSt9enable_ifIXsr10test_utilsE35device_test_enabled_for_warp_size_vIXT1_EEEvE4typeEPT_S5_i,comdat
	.protected	_Z24warp_reduce_valid_kernelI12hip_bfloat16Lj32ELj1EENSt9enable_ifIXsr10test_utilsE35device_test_enabled_for_warp_size_vIXT1_EEEvE4typeEPT_S5_i ; -- Begin function _Z24warp_reduce_valid_kernelI12hip_bfloat16Lj32ELj1EENSt9enable_ifIXsr10test_utilsE35device_test_enabled_for_warp_size_vIXT1_EEEvE4typeEPT_S5_i
	.globl	_Z24warp_reduce_valid_kernelI12hip_bfloat16Lj32ELj1EENSt9enable_ifIXsr10test_utilsE35device_test_enabled_for_warp_size_vIXT1_EEEvE4typeEPT_S5_i
	.p2align	8
	.type	_Z24warp_reduce_valid_kernelI12hip_bfloat16Lj32ELj1EENSt9enable_ifIXsr10test_utilsE35device_test_enabled_for_warp_size_vIXT1_EEEvE4typeEPT_S5_i,@function
_Z24warp_reduce_valid_kernelI12hip_bfloat16Lj32ELj1EENSt9enable_ifIXsr10test_utilsE35device_test_enabled_for_warp_size_vIXT1_EEEvE4typeEPT_S5_i: ; @_Z24warp_reduce_valid_kernelI12hip_bfloat16Lj32ELj1EENSt9enable_ifIXsr10test_utilsE35device_test_enabled_for_warp_size_vIXT1_EEEvE4typeEPT_S5_i
; %bb.0:
	s_clause 0x1
	s_load_b32 s4, s[0:1], 0x24
	s_load_b128 s[0:3], s[0:1], 0x0
	s_waitcnt lgkmcnt(0)
	s_and_b32 s4, s4, 0xffff
	s_delay_alu instid0(SALU_CYCLE_1) | instskip(SKIP_1) | instid1(VALU_DEP_1)
	v_mad_u64_u32 v[1:2], null, s15, s4, v[0:1]
	v_mov_b32_e32 v2, 0
	v_lshlrev_b64 v[0:1], 1, v[1:2]
	s_delay_alu instid0(VALU_DEP_1) | instskip(NEXT) | instid1(VALU_DEP_2)
	v_add_co_u32 v2, vcc_lo, s0, v0
	v_add_co_ci_u32_e32 v3, vcc_lo, s1, v1, vcc_lo
	v_add_co_u32 v0, vcc_lo, s2, v0
	v_add_co_ci_u32_e32 v1, vcc_lo, s3, v1, vcc_lo
	global_load_u16 v2, v[2:3], off
	s_waitcnt vmcnt(0)
	global_store_b16 v[0:1], v2, off
	s_nop 0
	s_sendmsg sendmsg(MSG_DEALLOC_VGPRS)
	s_endpgm
	.section	.rodata,"a",@progbits
	.p2align	6, 0x0
	.amdhsa_kernel _Z24warp_reduce_valid_kernelI12hip_bfloat16Lj32ELj1EENSt9enable_ifIXsr10test_utilsE35device_test_enabled_for_warp_size_vIXT1_EEEvE4typeEPT_S5_i
		.amdhsa_group_segment_fixed_size 0
		.amdhsa_private_segment_fixed_size 0
		.amdhsa_kernarg_size 280
		.amdhsa_user_sgpr_count 15
		.amdhsa_user_sgpr_dispatch_ptr 0
		.amdhsa_user_sgpr_queue_ptr 0
		.amdhsa_user_sgpr_kernarg_segment_ptr 1
		.amdhsa_user_sgpr_dispatch_id 0
		.amdhsa_user_sgpr_private_segment_size 0
		.amdhsa_wavefront_size32 1
		.amdhsa_uses_dynamic_stack 0
		.amdhsa_enable_private_segment 0
		.amdhsa_system_sgpr_workgroup_id_x 1
		.amdhsa_system_sgpr_workgroup_id_y 0
		.amdhsa_system_sgpr_workgroup_id_z 0
		.amdhsa_system_sgpr_workgroup_info 0
		.amdhsa_system_vgpr_workitem_id 0
		.amdhsa_next_free_vgpr 4
		.amdhsa_next_free_sgpr 16
		.amdhsa_reserve_vcc 1
		.amdhsa_float_round_mode_32 0
		.amdhsa_float_round_mode_16_64 0
		.amdhsa_float_denorm_mode_32 3
		.amdhsa_float_denorm_mode_16_64 3
		.amdhsa_dx10_clamp 1
		.amdhsa_ieee_mode 1
		.amdhsa_fp16_overflow 0
		.amdhsa_workgroup_processor_mode 1
		.amdhsa_memory_ordered 1
		.amdhsa_forward_progress 0
		.amdhsa_shared_vgpr_count 0
		.amdhsa_exception_fp_ieee_invalid_op 0
		.amdhsa_exception_fp_denorm_src 0
		.amdhsa_exception_fp_ieee_div_zero 0
		.amdhsa_exception_fp_ieee_overflow 0
		.amdhsa_exception_fp_ieee_underflow 0
		.amdhsa_exception_fp_ieee_inexact 0
		.amdhsa_exception_int_div_zero 0
	.end_amdhsa_kernel
	.section	.text._Z24warp_reduce_valid_kernelI12hip_bfloat16Lj32ELj1EENSt9enable_ifIXsr10test_utilsE35device_test_enabled_for_warp_size_vIXT1_EEEvE4typeEPT_S5_i,"axG",@progbits,_Z24warp_reduce_valid_kernelI12hip_bfloat16Lj32ELj1EENSt9enable_ifIXsr10test_utilsE35device_test_enabled_for_warp_size_vIXT1_EEEvE4typeEPT_S5_i,comdat
.Lfunc_end93:
	.size	_Z24warp_reduce_valid_kernelI12hip_bfloat16Lj32ELj1EENSt9enable_ifIXsr10test_utilsE35device_test_enabled_for_warp_size_vIXT1_EEEvE4typeEPT_S5_i, .Lfunc_end93-_Z24warp_reduce_valid_kernelI12hip_bfloat16Lj32ELj1EENSt9enable_ifIXsr10test_utilsE35device_test_enabled_for_warp_size_vIXT1_EEEvE4typeEPT_S5_i
                                        ; -- End function
	.section	.AMDGPU.csdata,"",@progbits
; Kernel info:
; codeLenInByte = 116
; NumSgprs: 18
; NumVgprs: 4
; ScratchSize: 0
; MemoryBound: 0
; FloatMode: 240
; IeeeMode: 1
; LDSByteSize: 0 bytes/workgroup (compile time only)
; SGPRBlocks: 2
; VGPRBlocks: 0
; NumSGPRsForWavesPerEU: 18
; NumVGPRsForWavesPerEU: 4
; Occupancy: 16
; WaveLimiterHint : 0
; COMPUTE_PGM_RSRC2:SCRATCH_EN: 0
; COMPUTE_PGM_RSRC2:USER_SGPR: 15
; COMPUTE_PGM_RSRC2:TRAP_HANDLER: 0
; COMPUTE_PGM_RSRC2:TGID_X_EN: 1
; COMPUTE_PGM_RSRC2:TGID_Y_EN: 0
; COMPUTE_PGM_RSRC2:TGID_Z_EN: 0
; COMPUTE_PGM_RSRC2:TIDIG_COMP_CNT: 0
	.section	.text._Z24warp_reduce_valid_kernelI12hip_bfloat16Lj64ELj1EENSt9enable_ifIXsr10test_utilsE35device_test_enabled_for_warp_size_vIXT1_EEEvE4typeEPT_S5_i,"axG",@progbits,_Z24warp_reduce_valid_kernelI12hip_bfloat16Lj64ELj1EENSt9enable_ifIXsr10test_utilsE35device_test_enabled_for_warp_size_vIXT1_EEEvE4typeEPT_S5_i,comdat
	.protected	_Z24warp_reduce_valid_kernelI12hip_bfloat16Lj64ELj1EENSt9enable_ifIXsr10test_utilsE35device_test_enabled_for_warp_size_vIXT1_EEEvE4typeEPT_S5_i ; -- Begin function _Z24warp_reduce_valid_kernelI12hip_bfloat16Lj64ELj1EENSt9enable_ifIXsr10test_utilsE35device_test_enabled_for_warp_size_vIXT1_EEEvE4typeEPT_S5_i
	.globl	_Z24warp_reduce_valid_kernelI12hip_bfloat16Lj64ELj1EENSt9enable_ifIXsr10test_utilsE35device_test_enabled_for_warp_size_vIXT1_EEEvE4typeEPT_S5_i
	.p2align	8
	.type	_Z24warp_reduce_valid_kernelI12hip_bfloat16Lj64ELj1EENSt9enable_ifIXsr10test_utilsE35device_test_enabled_for_warp_size_vIXT1_EEEvE4typeEPT_S5_i,@function
_Z24warp_reduce_valid_kernelI12hip_bfloat16Lj64ELj1EENSt9enable_ifIXsr10test_utilsE35device_test_enabled_for_warp_size_vIXT1_EEEvE4typeEPT_S5_i: ; @_Z24warp_reduce_valid_kernelI12hip_bfloat16Lj64ELj1EENSt9enable_ifIXsr10test_utilsE35device_test_enabled_for_warp_size_vIXT1_EEEvE4typeEPT_S5_i
; %bb.0:
	s_clause 0x1
	s_load_b32 s4, s[0:1], 0x24
	s_load_b128 s[0:3], s[0:1], 0x0
	s_waitcnt lgkmcnt(0)
	s_and_b32 s4, s4, 0xffff
	s_delay_alu instid0(SALU_CYCLE_1) | instskip(SKIP_1) | instid1(VALU_DEP_1)
	v_mad_u64_u32 v[1:2], null, s15, s4, v[0:1]
	v_mov_b32_e32 v2, 0
	v_lshlrev_b64 v[0:1], 1, v[1:2]
	s_delay_alu instid0(VALU_DEP_1) | instskip(NEXT) | instid1(VALU_DEP_2)
	v_add_co_u32 v2, vcc_lo, s0, v0
	v_add_co_ci_u32_e32 v3, vcc_lo, s1, v1, vcc_lo
	v_add_co_u32 v0, vcc_lo, s2, v0
	v_add_co_ci_u32_e32 v1, vcc_lo, s3, v1, vcc_lo
	global_load_u16 v2, v[2:3], off
	s_waitcnt vmcnt(0)
	global_store_b16 v[0:1], v2, off
	s_nop 0
	s_sendmsg sendmsg(MSG_DEALLOC_VGPRS)
	s_endpgm
	.section	.rodata,"a",@progbits
	.p2align	6, 0x0
	.amdhsa_kernel _Z24warp_reduce_valid_kernelI12hip_bfloat16Lj64ELj1EENSt9enable_ifIXsr10test_utilsE35device_test_enabled_for_warp_size_vIXT1_EEEvE4typeEPT_S5_i
		.amdhsa_group_segment_fixed_size 0
		.amdhsa_private_segment_fixed_size 0
		.amdhsa_kernarg_size 280
		.amdhsa_user_sgpr_count 15
		.amdhsa_user_sgpr_dispatch_ptr 0
		.amdhsa_user_sgpr_queue_ptr 0
		.amdhsa_user_sgpr_kernarg_segment_ptr 1
		.amdhsa_user_sgpr_dispatch_id 0
		.amdhsa_user_sgpr_private_segment_size 0
		.amdhsa_wavefront_size32 1
		.amdhsa_uses_dynamic_stack 0
		.amdhsa_enable_private_segment 0
		.amdhsa_system_sgpr_workgroup_id_x 1
		.amdhsa_system_sgpr_workgroup_id_y 0
		.amdhsa_system_sgpr_workgroup_id_z 0
		.amdhsa_system_sgpr_workgroup_info 0
		.amdhsa_system_vgpr_workitem_id 0
		.amdhsa_next_free_vgpr 4
		.amdhsa_next_free_sgpr 16
		.amdhsa_reserve_vcc 1
		.amdhsa_float_round_mode_32 0
		.amdhsa_float_round_mode_16_64 0
		.amdhsa_float_denorm_mode_32 3
		.amdhsa_float_denorm_mode_16_64 3
		.amdhsa_dx10_clamp 1
		.amdhsa_ieee_mode 1
		.amdhsa_fp16_overflow 0
		.amdhsa_workgroup_processor_mode 1
		.amdhsa_memory_ordered 1
		.amdhsa_forward_progress 0
		.amdhsa_shared_vgpr_count 0
		.amdhsa_exception_fp_ieee_invalid_op 0
		.amdhsa_exception_fp_denorm_src 0
		.amdhsa_exception_fp_ieee_div_zero 0
		.amdhsa_exception_fp_ieee_overflow 0
		.amdhsa_exception_fp_ieee_underflow 0
		.amdhsa_exception_fp_ieee_inexact 0
		.amdhsa_exception_int_div_zero 0
	.end_amdhsa_kernel
	.section	.text._Z24warp_reduce_valid_kernelI12hip_bfloat16Lj64ELj1EENSt9enable_ifIXsr10test_utilsE35device_test_enabled_for_warp_size_vIXT1_EEEvE4typeEPT_S5_i,"axG",@progbits,_Z24warp_reduce_valid_kernelI12hip_bfloat16Lj64ELj1EENSt9enable_ifIXsr10test_utilsE35device_test_enabled_for_warp_size_vIXT1_EEEvE4typeEPT_S5_i,comdat
.Lfunc_end94:
	.size	_Z24warp_reduce_valid_kernelI12hip_bfloat16Lj64ELj1EENSt9enable_ifIXsr10test_utilsE35device_test_enabled_for_warp_size_vIXT1_EEEvE4typeEPT_S5_i, .Lfunc_end94-_Z24warp_reduce_valid_kernelI12hip_bfloat16Lj64ELj1EENSt9enable_ifIXsr10test_utilsE35device_test_enabled_for_warp_size_vIXT1_EEEvE4typeEPT_S5_i
                                        ; -- End function
	.section	.AMDGPU.csdata,"",@progbits
; Kernel info:
; codeLenInByte = 116
; NumSgprs: 18
; NumVgprs: 4
; ScratchSize: 0
; MemoryBound: 0
; FloatMode: 240
; IeeeMode: 1
; LDSByteSize: 0 bytes/workgroup (compile time only)
; SGPRBlocks: 2
; VGPRBlocks: 0
; NumSGPRsForWavesPerEU: 18
; NumVGPRsForWavesPerEU: 4
; Occupancy: 16
; WaveLimiterHint : 0
; COMPUTE_PGM_RSRC2:SCRATCH_EN: 0
; COMPUTE_PGM_RSRC2:USER_SGPR: 15
; COMPUTE_PGM_RSRC2:TRAP_HANDLER: 0
; COMPUTE_PGM_RSRC2:TGID_X_EN: 1
; COMPUTE_PGM_RSRC2:TGID_Y_EN: 0
; COMPUTE_PGM_RSRC2:TGID_Z_EN: 0
; COMPUTE_PGM_RSRC2:TIDIG_COMP_CNT: 0
	.section	.text._Z24warp_reduce_valid_kernelI6__halfLj256ELj64EENSt9enable_ifIXntsr10test_utilsE35device_test_enabled_for_warp_size_vIXT1_EEEvE4typeEPT_S5_i,"axG",@progbits,_Z24warp_reduce_valid_kernelI6__halfLj256ELj64EENSt9enable_ifIXntsr10test_utilsE35device_test_enabled_for_warp_size_vIXT1_EEEvE4typeEPT_S5_i,comdat
	.protected	_Z24warp_reduce_valid_kernelI6__halfLj256ELj64EENSt9enable_ifIXntsr10test_utilsE35device_test_enabled_for_warp_size_vIXT1_EEEvE4typeEPT_S5_i ; -- Begin function _Z24warp_reduce_valid_kernelI6__halfLj256ELj64EENSt9enable_ifIXntsr10test_utilsE35device_test_enabled_for_warp_size_vIXT1_EEEvE4typeEPT_S5_i
	.globl	_Z24warp_reduce_valid_kernelI6__halfLj256ELj64EENSt9enable_ifIXntsr10test_utilsE35device_test_enabled_for_warp_size_vIXT1_EEEvE4typeEPT_S5_i
	.p2align	8
	.type	_Z24warp_reduce_valid_kernelI6__halfLj256ELj64EENSt9enable_ifIXntsr10test_utilsE35device_test_enabled_for_warp_size_vIXT1_EEEvE4typeEPT_S5_i,@function
_Z24warp_reduce_valid_kernelI6__halfLj256ELj64EENSt9enable_ifIXntsr10test_utilsE35device_test_enabled_for_warp_size_vIXT1_EEEvE4typeEPT_S5_i: ; @_Z24warp_reduce_valid_kernelI6__halfLj256ELj64EENSt9enable_ifIXntsr10test_utilsE35device_test_enabled_for_warp_size_vIXT1_EEEvE4typeEPT_S5_i
; %bb.0:
	s_endpgm
	.section	.rodata,"a",@progbits
	.p2align	6, 0x0
	.amdhsa_kernel _Z24warp_reduce_valid_kernelI6__halfLj256ELj64EENSt9enable_ifIXntsr10test_utilsE35device_test_enabled_for_warp_size_vIXT1_EEEvE4typeEPT_S5_i
		.amdhsa_group_segment_fixed_size 0
		.amdhsa_private_segment_fixed_size 0
		.amdhsa_kernarg_size 20
		.amdhsa_user_sgpr_count 15
		.amdhsa_user_sgpr_dispatch_ptr 0
		.amdhsa_user_sgpr_queue_ptr 0
		.amdhsa_user_sgpr_kernarg_segment_ptr 1
		.amdhsa_user_sgpr_dispatch_id 0
		.amdhsa_user_sgpr_private_segment_size 0
		.amdhsa_wavefront_size32 1
		.amdhsa_uses_dynamic_stack 0
		.amdhsa_enable_private_segment 0
		.amdhsa_system_sgpr_workgroup_id_x 1
		.amdhsa_system_sgpr_workgroup_id_y 0
		.amdhsa_system_sgpr_workgroup_id_z 0
		.amdhsa_system_sgpr_workgroup_info 0
		.amdhsa_system_vgpr_workitem_id 0
		.amdhsa_next_free_vgpr 1
		.amdhsa_next_free_sgpr 1
		.amdhsa_reserve_vcc 0
		.amdhsa_float_round_mode_32 0
		.amdhsa_float_round_mode_16_64 0
		.amdhsa_float_denorm_mode_32 3
		.amdhsa_float_denorm_mode_16_64 3
		.amdhsa_dx10_clamp 1
		.amdhsa_ieee_mode 1
		.amdhsa_fp16_overflow 0
		.amdhsa_workgroup_processor_mode 1
		.amdhsa_memory_ordered 1
		.amdhsa_forward_progress 0
		.amdhsa_shared_vgpr_count 0
		.amdhsa_exception_fp_ieee_invalid_op 0
		.amdhsa_exception_fp_denorm_src 0
		.amdhsa_exception_fp_ieee_div_zero 0
		.amdhsa_exception_fp_ieee_overflow 0
		.amdhsa_exception_fp_ieee_underflow 0
		.amdhsa_exception_fp_ieee_inexact 0
		.amdhsa_exception_int_div_zero 0
	.end_amdhsa_kernel
	.section	.text._Z24warp_reduce_valid_kernelI6__halfLj256ELj64EENSt9enable_ifIXntsr10test_utilsE35device_test_enabled_for_warp_size_vIXT1_EEEvE4typeEPT_S5_i,"axG",@progbits,_Z24warp_reduce_valid_kernelI6__halfLj256ELj64EENSt9enable_ifIXntsr10test_utilsE35device_test_enabled_for_warp_size_vIXT1_EEEvE4typeEPT_S5_i,comdat
.Lfunc_end95:
	.size	_Z24warp_reduce_valid_kernelI6__halfLj256ELj64EENSt9enable_ifIXntsr10test_utilsE35device_test_enabled_for_warp_size_vIXT1_EEEvE4typeEPT_S5_i, .Lfunc_end95-_Z24warp_reduce_valid_kernelI6__halfLj256ELj64EENSt9enable_ifIXntsr10test_utilsE35device_test_enabled_for_warp_size_vIXT1_EEEvE4typeEPT_S5_i
                                        ; -- End function
	.section	.AMDGPU.csdata,"",@progbits
; Kernel info:
; codeLenInByte = 4
; NumSgprs: 0
; NumVgprs: 0
; ScratchSize: 0
; MemoryBound: 0
; FloatMode: 240
; IeeeMode: 1
; LDSByteSize: 0 bytes/workgroup (compile time only)
; SGPRBlocks: 0
; VGPRBlocks: 0
; NumSGPRsForWavesPerEU: 1
; NumVGPRsForWavesPerEU: 1
; Occupancy: 16
; WaveLimiterHint : 0
; COMPUTE_PGM_RSRC2:SCRATCH_EN: 0
; COMPUTE_PGM_RSRC2:USER_SGPR: 15
; COMPUTE_PGM_RSRC2:TRAP_HANDLER: 0
; COMPUTE_PGM_RSRC2:TGID_X_EN: 1
; COMPUTE_PGM_RSRC2:TGID_Y_EN: 0
; COMPUTE_PGM_RSRC2:TGID_Z_EN: 0
; COMPUTE_PGM_RSRC2:TIDIG_COMP_CNT: 0
	.section	.text._Z24warp_reduce_valid_kernelI6__halfLj128ELj32EENSt9enable_ifIXsr10test_utilsE35device_test_enabled_for_warp_size_vIXT1_EEEvE4typeEPT_S5_i,"axG",@progbits,_Z24warp_reduce_valid_kernelI6__halfLj128ELj32EENSt9enable_ifIXsr10test_utilsE35device_test_enabled_for_warp_size_vIXT1_EEEvE4typeEPT_S5_i,comdat
	.protected	_Z24warp_reduce_valid_kernelI6__halfLj128ELj32EENSt9enable_ifIXsr10test_utilsE35device_test_enabled_for_warp_size_vIXT1_EEEvE4typeEPT_S5_i ; -- Begin function _Z24warp_reduce_valid_kernelI6__halfLj128ELj32EENSt9enable_ifIXsr10test_utilsE35device_test_enabled_for_warp_size_vIXT1_EEEvE4typeEPT_S5_i
	.globl	_Z24warp_reduce_valid_kernelI6__halfLj128ELj32EENSt9enable_ifIXsr10test_utilsE35device_test_enabled_for_warp_size_vIXT1_EEEvE4typeEPT_S5_i
	.p2align	8
	.type	_Z24warp_reduce_valid_kernelI6__halfLj128ELj32EENSt9enable_ifIXsr10test_utilsE35device_test_enabled_for_warp_size_vIXT1_EEEvE4typeEPT_S5_i,@function
_Z24warp_reduce_valid_kernelI6__halfLj128ELj32EENSt9enable_ifIXsr10test_utilsE35device_test_enabled_for_warp_size_vIXT1_EEEvE4typeEPT_S5_i: ; @_Z24warp_reduce_valid_kernelI6__halfLj128ELj32EENSt9enable_ifIXsr10test_utilsE35device_test_enabled_for_warp_size_vIXT1_EEEvE4typeEPT_S5_i
; %bb.0:
	s_clause 0x1
	s_load_b32 s2, s[0:1], 0x24
	s_load_b128 s[4:7], s[0:1], 0x0
	v_mbcnt_lo_u32_b32 v9, -1, 0
	s_load_b32 s3, s[0:1], 0x10
	s_delay_alu instid0(VALU_DEP_1)
	v_add_nc_u32_e32 v6, 1, v9
	v_add_nc_u32_e32 v8, 2, v9
	v_cmp_gt_u32_e64 s0, 24, v9
	v_cmp_gt_u32_e64 s1, 16, v9
	s_waitcnt lgkmcnt(0)
	s_and_b32 s2, s2, 0xffff
	s_delay_alu instid0(SALU_CYCLE_1) | instskip(SKIP_2) | instid1(VALU_DEP_2)
	v_mad_u64_u32 v[1:2], null, s15, s2, v[0:1]
	v_mov_b32_e32 v2, 0
	v_cmp_gt_u32_e64 s2, s3, v6
	v_lshlrev_b64 v[2:3], 1, v[1:2]
	s_delay_alu instid0(VALU_DEP_1) | instskip(NEXT) | instid1(VALU_DEP_2)
	v_add_co_u32 v2, vcc_lo, s4, v2
	v_add_co_ci_u32_e32 v3, vcc_lo, s5, v3, vcc_lo
	v_cmp_ne_u32_e32 vcc_lo, 31, v9
	global_load_u16 v2, v[2:3], off
	v_add_co_ci_u32_e32 v3, vcc_lo, 0, v9, vcc_lo
	v_cmp_gt_u32_e32 vcc_lo, 30, v9
	s_delay_alu instid0(VALU_DEP_2)
	v_lshlrev_b32_e32 v3, 2, v3
	v_cndmask_b32_e64 v5, 0, 1, vcc_lo
	v_cmp_gt_u32_e32 vcc_lo, 28, v9
	s_waitcnt vmcnt(0)
	v_and_b32_e32 v4, 0xffff, v2
	ds_bpermute_b32 v3, v3, v4
	s_waitcnt lgkmcnt(0)
	v_add_f16_e32 v3, v2, v3
	s_delay_alu instid0(VALU_DEP_1) | instskip(NEXT) | instid1(VALU_DEP_1)
	v_and_b32_e32 v7, 0xffff, v3
	v_cndmask_b32_e64 v6, v4, v7, s2
	v_cndmask_b32_e64 v7, 0, 1, vcc_lo
	v_cmp_gt_u32_e32 vcc_lo, s3, v8
	v_lshlrev_b32_e32 v5, 1, v5
	s_delay_alu instid0(VALU_DEP_3) | instskip(SKIP_1) | instid1(VALU_DEP_2)
	v_lshlrev_b32_e32 v7, 2, v7
	s_or_b32 s4, s2, vcc_lo
	v_add_lshl_u32 v5, v5, v9, 2
	s_delay_alu instid0(VALU_DEP_2) | instskip(SKIP_3) | instid1(VALU_DEP_1)
	v_add_lshl_u32 v7, v7, v9, 2
	ds_bpermute_b32 v4, v5, v6
	v_cndmask_b32_e64 v5, v2, v3, s2
	s_waitcnt lgkmcnt(0)
	v_add_f16_e32 v4, v4, v5
	s_delay_alu instid0(VALU_DEP_1) | instskip(SKIP_1) | instid1(VALU_DEP_2)
	v_and_b32_e32 v10, 0xffff, v4
	v_cndmask_b32_e32 v8, v5, v4, vcc_lo
	v_cndmask_b32_e32 v6, v6, v10, vcc_lo
	v_cndmask_b32_e64 v10, 0, 1, s0
	ds_bpermute_b32 v7, v7, v6
	s_waitcnt lgkmcnt(0)
	v_add_f16_e32 v5, v7, v8
	v_lshlrev_b32_e32 v7, 3, v10
	v_add_nc_u32_e32 v10, 4, v9
	s_delay_alu instid0(VALU_DEP_3) | instskip(NEXT) | instid1(VALU_DEP_3)
	v_and_b32_e32 v11, 0xffff, v5
	v_add_lshl_u32 v7, v7, v9, 2
	s_delay_alu instid0(VALU_DEP_3) | instskip(NEXT) | instid1(VALU_DEP_1)
	v_cmp_gt_u32_e64 s0, s3, v10
	v_cndmask_b32_e64 v10, v6, v11, s0
	v_cndmask_b32_e64 v6, v8, v5, s0
	;; [unrolled: 1-line block ×3, first 2 shown]
	v_add_nc_u32_e32 v11, 8, v9
	ds_bpermute_b32 v7, v7, v10
	v_lshlrev_b32_e32 v8, 4, v8
	v_cmp_gt_u32_e64 s1, s3, v11
	s_delay_alu instid0(VALU_DEP_2) | instskip(SKIP_1) | instid1(VALU_DEP_1)
	v_add_lshl_u32 v8, v8, v9, 2
	v_add_nc_u32_e32 v9, 16, v9
	v_cmp_gt_u32_e64 s2, s3, v9
	s_or_b32 s3, s0, s4
	s_delay_alu instid0(SALU_CYCLE_1)
	s_or_b32 s3, s1, s3
	s_delay_alu instid0(VALU_DEP_1) | instid1(SALU_CYCLE_1)
	s_or_b32 s4, s2, s3
	s_waitcnt lgkmcnt(0)
	v_add_f16_e32 v7, v7, v6
	s_delay_alu instid0(VALU_DEP_1) | instskip(NEXT) | instid1(VALU_DEP_1)
	v_and_b32_e32 v12, 0xffff, v7
	v_cndmask_b32_e64 v10, v10, v12, s1
	ds_bpermute_b32 v8, v8, v10
	s_and_saveexec_b32 s3, s4
	s_cbranch_execz .LBB96_2
; %bb.1:
	v_cndmask_b32_e32 v2, v3, v4, vcc_lo
	v_cndmask_b32_e64 v3, v6, v7, s1
	s_delay_alu instid0(VALU_DEP_2) | instskip(SKIP_1) | instid1(VALU_DEP_2)
	v_cndmask_b32_e64 v2, v2, v5, s0
	s_waitcnt lgkmcnt(0)
	v_add_f16_e32 v3, v8, v3
	s_delay_alu instid0(VALU_DEP_2) | instskip(NEXT) | instid1(VALU_DEP_1)
	v_cndmask_b32_e64 v2, v2, v7, s1
	v_cndmask_b32_e64 v2, v2, v3, s2
.LBB96_2:
	s_or_b32 exec_lo, exec_lo, s3
	v_and_b32_e32 v0, 31, v0
	s_mov_b32 s0, exec_lo
	s_delay_alu instid0(VALU_DEP_1)
	v_cmpx_eq_u32_e32 0, v0
	s_cbranch_execz .LBB96_4
; %bb.3:
	v_lshrrev_b32_e32 v0, 4, v1
	s_delay_alu instid0(VALU_DEP_1)
	v_and_b32_e32 v0, 0xffffffe, v0
	global_store_b16 v0, v2, s[6:7]
.LBB96_4:
	s_nop 0
	s_sendmsg sendmsg(MSG_DEALLOC_VGPRS)
	s_endpgm
	.section	.rodata,"a",@progbits
	.p2align	6, 0x0
	.amdhsa_kernel _Z24warp_reduce_valid_kernelI6__halfLj128ELj32EENSt9enable_ifIXsr10test_utilsE35device_test_enabled_for_warp_size_vIXT1_EEEvE4typeEPT_S5_i
		.amdhsa_group_segment_fixed_size 0
		.amdhsa_private_segment_fixed_size 0
		.amdhsa_kernarg_size 280
		.amdhsa_user_sgpr_count 15
		.amdhsa_user_sgpr_dispatch_ptr 0
		.amdhsa_user_sgpr_queue_ptr 0
		.amdhsa_user_sgpr_kernarg_segment_ptr 1
		.amdhsa_user_sgpr_dispatch_id 0
		.amdhsa_user_sgpr_private_segment_size 0
		.amdhsa_wavefront_size32 1
		.amdhsa_uses_dynamic_stack 0
		.amdhsa_enable_private_segment 0
		.amdhsa_system_sgpr_workgroup_id_x 1
		.amdhsa_system_sgpr_workgroup_id_y 0
		.amdhsa_system_sgpr_workgroup_id_z 0
		.amdhsa_system_sgpr_workgroup_info 0
		.amdhsa_system_vgpr_workitem_id 0
		.amdhsa_next_free_vgpr 13
		.amdhsa_next_free_sgpr 16
		.amdhsa_reserve_vcc 1
		.amdhsa_float_round_mode_32 0
		.amdhsa_float_round_mode_16_64 0
		.amdhsa_float_denorm_mode_32 3
		.amdhsa_float_denorm_mode_16_64 3
		.amdhsa_dx10_clamp 1
		.amdhsa_ieee_mode 1
		.amdhsa_fp16_overflow 0
		.amdhsa_workgroup_processor_mode 1
		.amdhsa_memory_ordered 1
		.amdhsa_forward_progress 0
		.amdhsa_shared_vgpr_count 0
		.amdhsa_exception_fp_ieee_invalid_op 0
		.amdhsa_exception_fp_denorm_src 0
		.amdhsa_exception_fp_ieee_div_zero 0
		.amdhsa_exception_fp_ieee_overflow 0
		.amdhsa_exception_fp_ieee_underflow 0
		.amdhsa_exception_fp_ieee_inexact 0
		.amdhsa_exception_int_div_zero 0
	.end_amdhsa_kernel
	.section	.text._Z24warp_reduce_valid_kernelI6__halfLj128ELj32EENSt9enable_ifIXsr10test_utilsE35device_test_enabled_for_warp_size_vIXT1_EEEvE4typeEPT_S5_i,"axG",@progbits,_Z24warp_reduce_valid_kernelI6__halfLj128ELj32EENSt9enable_ifIXsr10test_utilsE35device_test_enabled_for_warp_size_vIXT1_EEEvE4typeEPT_S5_i,comdat
.Lfunc_end96:
	.size	_Z24warp_reduce_valid_kernelI6__halfLj128ELj32EENSt9enable_ifIXsr10test_utilsE35device_test_enabled_for_warp_size_vIXT1_EEEvE4typeEPT_S5_i, .Lfunc_end96-_Z24warp_reduce_valid_kernelI6__halfLj128ELj32EENSt9enable_ifIXsr10test_utilsE35device_test_enabled_for_warp_size_vIXT1_EEEvE4typeEPT_S5_i
                                        ; -- End function
	.section	.AMDGPU.csdata,"",@progbits
; Kernel info:
; codeLenInByte = 616
; NumSgprs: 18
; NumVgprs: 13
; ScratchSize: 0
; MemoryBound: 0
; FloatMode: 240
; IeeeMode: 1
; LDSByteSize: 0 bytes/workgroup (compile time only)
; SGPRBlocks: 2
; VGPRBlocks: 1
; NumSGPRsForWavesPerEU: 18
; NumVGPRsForWavesPerEU: 13
; Occupancy: 16
; WaveLimiterHint : 0
; COMPUTE_PGM_RSRC2:SCRATCH_EN: 0
; COMPUTE_PGM_RSRC2:USER_SGPR: 15
; COMPUTE_PGM_RSRC2:TRAP_HANDLER: 0
; COMPUTE_PGM_RSRC2:TGID_X_EN: 1
; COMPUTE_PGM_RSRC2:TGID_Y_EN: 0
; COMPUTE_PGM_RSRC2:TGID_Z_EN: 0
; COMPUTE_PGM_RSRC2:TIDIG_COMP_CNT: 0
	.section	.text._Z24warp_reduce_valid_kernelI6__halfLj64ELj16EENSt9enable_ifIXsr10test_utilsE35device_test_enabled_for_warp_size_vIXT1_EEEvE4typeEPT_S5_i,"axG",@progbits,_Z24warp_reduce_valid_kernelI6__halfLj64ELj16EENSt9enable_ifIXsr10test_utilsE35device_test_enabled_for_warp_size_vIXT1_EEEvE4typeEPT_S5_i,comdat
	.protected	_Z24warp_reduce_valid_kernelI6__halfLj64ELj16EENSt9enable_ifIXsr10test_utilsE35device_test_enabled_for_warp_size_vIXT1_EEEvE4typeEPT_S5_i ; -- Begin function _Z24warp_reduce_valid_kernelI6__halfLj64ELj16EENSt9enable_ifIXsr10test_utilsE35device_test_enabled_for_warp_size_vIXT1_EEEvE4typeEPT_S5_i
	.globl	_Z24warp_reduce_valid_kernelI6__halfLj64ELj16EENSt9enable_ifIXsr10test_utilsE35device_test_enabled_for_warp_size_vIXT1_EEEvE4typeEPT_S5_i
	.p2align	8
	.type	_Z24warp_reduce_valid_kernelI6__halfLj64ELj16EENSt9enable_ifIXsr10test_utilsE35device_test_enabled_for_warp_size_vIXT1_EEEvE4typeEPT_S5_i,@function
_Z24warp_reduce_valid_kernelI6__halfLj64ELj16EENSt9enable_ifIXsr10test_utilsE35device_test_enabled_for_warp_size_vIXT1_EEEvE4typeEPT_S5_i: ; @_Z24warp_reduce_valid_kernelI6__halfLj64ELj16EENSt9enable_ifIXsr10test_utilsE35device_test_enabled_for_warp_size_vIXT1_EEEvE4typeEPT_S5_i
; %bb.0:
	s_clause 0x1
	s_load_b32 s2, s[0:1], 0x24
	s_load_b128 s[4:7], s[0:1], 0x0
	v_mbcnt_lo_u32_b32 v8, -1, 0
	s_waitcnt lgkmcnt(0)
	s_and_b32 s2, s2, 0xffff
	s_delay_alu instid0(SALU_CYCLE_1) | instskip(SKIP_2) | instid1(VALU_DEP_1)
	v_mad_u64_u32 v[1:2], null, s15, s2, v[0:1]
	v_mov_b32_e32 v2, 0
	s_load_b32 s2, s[0:1], 0x10
	v_lshlrev_b64 v[2:3], 1, v[1:2]
	s_delay_alu instid0(VALU_DEP_1) | instskip(NEXT) | instid1(VALU_DEP_2)
	v_add_co_u32 v2, vcc_lo, s4, v2
	v_add_co_ci_u32_e32 v3, vcc_lo, s5, v3, vcc_lo
	global_load_u16 v2, v[2:3], off
	v_and_b32_e32 v3, 15, v8
	s_delay_alu instid0(VALU_DEP_1)
	v_cmp_ne_u32_e32 vcc_lo, 15, v3
	v_add_nc_u32_e32 v7, 1, v3
	v_add_nc_u32_e32 v10, 2, v3
	v_cmp_gt_u32_e64 s0, 8, v3
	v_add_co_ci_u32_e32 v4, vcc_lo, 0, v8, vcc_lo
	v_cmp_gt_u32_e32 vcc_lo, 14, v3
	s_waitcnt lgkmcnt(0)
	v_cmp_gt_u32_e64 s1, s2, v7
	s_delay_alu instid0(VALU_DEP_3) | instskip(SKIP_2) | instid1(VALU_DEP_2)
	v_lshlrev_b32_e32 v4, 2, v4
	v_cndmask_b32_e64 v6, 0, 1, vcc_lo
	v_cmp_gt_u32_e32 vcc_lo, 12, v3
	v_lshlrev_b32_e32 v6, 1, v6
	s_delay_alu instid0(VALU_DEP_1)
	v_add_lshl_u32 v6, v6, v8, 2
	s_waitcnt vmcnt(0)
	v_and_b32_e32 v5, 0xffff, v2
	ds_bpermute_b32 v4, v4, v5
	s_waitcnt lgkmcnt(0)
	v_add_f16_e32 v4, v2, v4
	s_delay_alu instid0(VALU_DEP_1) | instskip(NEXT) | instid1(VALU_DEP_1)
	v_and_b32_e32 v9, 0xffff, v4
	v_cndmask_b32_e64 v7, v5, v9, s1
	v_cndmask_b32_e64 v9, 0, 1, vcc_lo
	v_cmp_gt_u32_e32 vcc_lo, s2, v10
	ds_bpermute_b32 v5, v6, v7
	v_cndmask_b32_e64 v6, v2, v4, s1
	v_lshlrev_b32_e32 v9, 2, v9
	s_delay_alu instid0(VALU_DEP_1) | instskip(SKIP_1) | instid1(VALU_DEP_3)
	v_add_lshl_u32 v9, v9, v8, 2
	s_waitcnt lgkmcnt(0)
	v_add_f16_e32 v5, v5, v6
	s_delay_alu instid0(VALU_DEP_1) | instskip(NEXT) | instid1(VALU_DEP_1)
	v_and_b32_e32 v11, 0xffff, v5
	v_dual_cndmask_b32 v10, v7, v11 :: v_dual_cndmask_b32 v7, v6, v5
	v_add_nc_u32_e32 v11, 4, v3
	ds_bpermute_b32 v9, v9, v10
	s_waitcnt lgkmcnt(0)
	v_add_f16_e32 v6, v9, v7
	v_cndmask_b32_e64 v9, 0, 1, s0
	v_cmp_gt_u32_e64 s0, s2, v11
	s_delay_alu instid0(VALU_DEP_3) | instskip(NEXT) | instid1(VALU_DEP_3)
	v_and_b32_e32 v12, 0xffff, v6
	v_lshlrev_b32_e32 v9, 3, v9
	s_delay_alu instid0(VALU_DEP_2) | instskip(NEXT) | instid1(VALU_DEP_2)
	v_cndmask_b32_e64 v10, v10, v12, s0
	v_add_lshl_u32 v8, v9, v8, 2
	ds_bpermute_b32 v8, v8, v10
	s_and_saveexec_b32 s3, s1
	s_cbranch_execz .LBB97_2
; %bb.1:
	v_cndmask_b32_e64 v2, v7, v6, s0
	v_dual_cndmask_b32 v4, v4, v5 :: v_dual_add_nc_u32 v3, 8, v3
	s_waitcnt lgkmcnt(0)
	s_delay_alu instid0(VALU_DEP_2) | instskip(NEXT) | instid1(VALU_DEP_2)
	v_add_f16_e32 v2, v8, v2
	v_cndmask_b32_e64 v4, v4, v6, s0
	s_delay_alu instid0(VALU_DEP_3) | instskip(NEXT) | instid1(VALU_DEP_2)
	v_cmp_gt_u32_e32 vcc_lo, s2, v3
	v_cndmask_b32_e32 v2, v4, v2, vcc_lo
.LBB97_2:
	s_or_b32 exec_lo, exec_lo, s3
	v_and_b32_e32 v0, 15, v0
	s_mov_b32 s0, exec_lo
	s_delay_alu instid0(VALU_DEP_1)
	v_cmpx_eq_u32_e32 0, v0
	s_cbranch_execz .LBB97_4
; %bb.3:
	v_lshrrev_b32_e32 v0, 3, v1
	s_delay_alu instid0(VALU_DEP_1)
	v_and_b32_e32 v0, 0x1ffffffe, v0
	global_store_b16 v0, v2, s[6:7]
.LBB97_4:
	s_nop 0
	s_sendmsg sendmsg(MSG_DEALLOC_VGPRS)
	s_endpgm
	.section	.rodata,"a",@progbits
	.p2align	6, 0x0
	.amdhsa_kernel _Z24warp_reduce_valid_kernelI6__halfLj64ELj16EENSt9enable_ifIXsr10test_utilsE35device_test_enabled_for_warp_size_vIXT1_EEEvE4typeEPT_S5_i
		.amdhsa_group_segment_fixed_size 0
		.amdhsa_private_segment_fixed_size 0
		.amdhsa_kernarg_size 280
		.amdhsa_user_sgpr_count 15
		.amdhsa_user_sgpr_dispatch_ptr 0
		.amdhsa_user_sgpr_queue_ptr 0
		.amdhsa_user_sgpr_kernarg_segment_ptr 1
		.amdhsa_user_sgpr_dispatch_id 0
		.amdhsa_user_sgpr_private_segment_size 0
		.amdhsa_wavefront_size32 1
		.amdhsa_uses_dynamic_stack 0
		.amdhsa_enable_private_segment 0
		.amdhsa_system_sgpr_workgroup_id_x 1
		.amdhsa_system_sgpr_workgroup_id_y 0
		.amdhsa_system_sgpr_workgroup_id_z 0
		.amdhsa_system_sgpr_workgroup_info 0
		.amdhsa_system_vgpr_workitem_id 0
		.amdhsa_next_free_vgpr 13
		.amdhsa_next_free_sgpr 16
		.amdhsa_reserve_vcc 1
		.amdhsa_float_round_mode_32 0
		.amdhsa_float_round_mode_16_64 0
		.amdhsa_float_denorm_mode_32 3
		.amdhsa_float_denorm_mode_16_64 3
		.amdhsa_dx10_clamp 1
		.amdhsa_ieee_mode 1
		.amdhsa_fp16_overflow 0
		.amdhsa_workgroup_processor_mode 1
		.amdhsa_memory_ordered 1
		.amdhsa_forward_progress 0
		.amdhsa_shared_vgpr_count 0
		.amdhsa_exception_fp_ieee_invalid_op 0
		.amdhsa_exception_fp_denorm_src 0
		.amdhsa_exception_fp_ieee_div_zero 0
		.amdhsa_exception_fp_ieee_overflow 0
		.amdhsa_exception_fp_ieee_underflow 0
		.amdhsa_exception_fp_ieee_inexact 0
		.amdhsa_exception_int_div_zero 0
	.end_amdhsa_kernel
	.section	.text._Z24warp_reduce_valid_kernelI6__halfLj64ELj16EENSt9enable_ifIXsr10test_utilsE35device_test_enabled_for_warp_size_vIXT1_EEEvE4typeEPT_S5_i,"axG",@progbits,_Z24warp_reduce_valid_kernelI6__halfLj64ELj16EENSt9enable_ifIXsr10test_utilsE35device_test_enabled_for_warp_size_vIXT1_EEEvE4typeEPT_S5_i,comdat
.Lfunc_end97:
	.size	_Z24warp_reduce_valid_kernelI6__halfLj64ELj16EENSt9enable_ifIXsr10test_utilsE35device_test_enabled_for_warp_size_vIXT1_EEEvE4typeEPT_S5_i, .Lfunc_end97-_Z24warp_reduce_valid_kernelI6__halfLj64ELj16EENSt9enable_ifIXsr10test_utilsE35device_test_enabled_for_warp_size_vIXT1_EEEvE4typeEPT_S5_i
                                        ; -- End function
	.section	.AMDGPU.csdata,"",@progbits
; Kernel info:
; codeLenInByte = 496
; NumSgprs: 18
; NumVgprs: 13
; ScratchSize: 0
; MemoryBound: 0
; FloatMode: 240
; IeeeMode: 1
; LDSByteSize: 0 bytes/workgroup (compile time only)
; SGPRBlocks: 2
; VGPRBlocks: 1
; NumSGPRsForWavesPerEU: 18
; NumVGPRsForWavesPerEU: 13
; Occupancy: 16
; WaveLimiterHint : 0
; COMPUTE_PGM_RSRC2:SCRATCH_EN: 0
; COMPUTE_PGM_RSRC2:USER_SGPR: 15
; COMPUTE_PGM_RSRC2:TRAP_HANDLER: 0
; COMPUTE_PGM_RSRC2:TGID_X_EN: 1
; COMPUTE_PGM_RSRC2:TGID_Y_EN: 0
; COMPUTE_PGM_RSRC2:TGID_Z_EN: 0
; COMPUTE_PGM_RSRC2:TIDIG_COMP_CNT: 0
	.section	.text._Z24warp_reduce_valid_kernelI6__halfLj32ELj8EENSt9enable_ifIXsr10test_utilsE35device_test_enabled_for_warp_size_vIXT1_EEEvE4typeEPT_S5_i,"axG",@progbits,_Z24warp_reduce_valid_kernelI6__halfLj32ELj8EENSt9enable_ifIXsr10test_utilsE35device_test_enabled_for_warp_size_vIXT1_EEEvE4typeEPT_S5_i,comdat
	.protected	_Z24warp_reduce_valid_kernelI6__halfLj32ELj8EENSt9enable_ifIXsr10test_utilsE35device_test_enabled_for_warp_size_vIXT1_EEEvE4typeEPT_S5_i ; -- Begin function _Z24warp_reduce_valid_kernelI6__halfLj32ELj8EENSt9enable_ifIXsr10test_utilsE35device_test_enabled_for_warp_size_vIXT1_EEEvE4typeEPT_S5_i
	.globl	_Z24warp_reduce_valid_kernelI6__halfLj32ELj8EENSt9enable_ifIXsr10test_utilsE35device_test_enabled_for_warp_size_vIXT1_EEEvE4typeEPT_S5_i
	.p2align	8
	.type	_Z24warp_reduce_valid_kernelI6__halfLj32ELj8EENSt9enable_ifIXsr10test_utilsE35device_test_enabled_for_warp_size_vIXT1_EEEvE4typeEPT_S5_i,@function
_Z24warp_reduce_valid_kernelI6__halfLj32ELj8EENSt9enable_ifIXsr10test_utilsE35device_test_enabled_for_warp_size_vIXT1_EEEvE4typeEPT_S5_i: ; @_Z24warp_reduce_valid_kernelI6__halfLj32ELj8EENSt9enable_ifIXsr10test_utilsE35device_test_enabled_for_warp_size_vIXT1_EEEvE4typeEPT_S5_i
; %bb.0:
	s_clause 0x1
	s_load_b32 s2, s[0:1], 0x24
	s_load_b128 s[4:7], s[0:1], 0x0
	v_mbcnt_lo_u32_b32 v6, -1, 0
	s_load_b32 s1, s[0:1], 0x10
	s_waitcnt lgkmcnt(0)
	s_and_b32 s2, s2, 0xffff
	s_delay_alu instid0(SALU_CYCLE_1) | instskip(SKIP_1) | instid1(VALU_DEP_1)
	v_mad_u64_u32 v[1:2], null, s15, s2, v[0:1]
	v_mov_b32_e32 v2, 0
	v_lshlrev_b64 v[2:3], 1, v[1:2]
	s_delay_alu instid0(VALU_DEP_1) | instskip(NEXT) | instid1(VALU_DEP_2)
	v_add_co_u32 v2, vcc_lo, s4, v2
	v_add_co_ci_u32_e32 v3, vcc_lo, s5, v3, vcc_lo
	global_load_u16 v2, v[2:3], off
	v_and_b32_e32 v3, 7, v6
	s_delay_alu instid0(VALU_DEP_1) | instskip(SKIP_3) | instid1(VALU_DEP_3)
	v_cmp_ne_u32_e32 vcc_lo, 7, v3
	v_add_nc_u32_e32 v8, 1, v3
	v_add_co_ci_u32_e32 v4, vcc_lo, 0, v6, vcc_lo
	v_cmp_gt_u32_e32 vcc_lo, 6, v3
	v_cmp_gt_u32_e64 s0, s1, v8
	s_delay_alu instid0(VALU_DEP_3)
	v_lshlrev_b32_e32 v4, 2, v4
	v_cndmask_b32_e64 v7, 0, 1, vcc_lo
	v_cmp_gt_u32_e32 vcc_lo, 4, v3
	s_waitcnt vmcnt(0)
	v_and_b32_e32 v5, 0xffff, v2
	ds_bpermute_b32 v4, v4, v5
	s_waitcnt lgkmcnt(0)
	v_add_f16_e32 v4, v2, v4
	s_delay_alu instid0(VALU_DEP_1) | instskip(NEXT) | instid1(VALU_DEP_1)
	v_and_b32_e32 v9, 0xffff, v4
	v_cndmask_b32_e64 v8, v5, v9, s0
	v_lshlrev_b32_e32 v7, 1, v7
	v_add_nc_u32_e32 v9, 2, v3
	s_delay_alu instid0(VALU_DEP_2) | instskip(SKIP_3) | instid1(VALU_DEP_1)
	v_add_lshl_u32 v7, v7, v6, 2
	ds_bpermute_b32 v5, v7, v8
	v_cndmask_b32_e64 v7, v2, v4, s0
	s_waitcnt lgkmcnt(0)
	v_add_f16_e32 v5, v5, v7
	v_cndmask_b32_e64 v7, 0, 1, vcc_lo
	v_cmp_gt_u32_e32 vcc_lo, s1, v9
	s_delay_alu instid0(VALU_DEP_3) | instskip(NEXT) | instid1(VALU_DEP_1)
	v_and_b32_e32 v10, 0xffff, v5
	v_dual_cndmask_b32 v8, v8, v10 :: v_dual_lshlrev_b32 v7, 2, v7
	s_delay_alu instid0(VALU_DEP_1)
	v_add_lshl_u32 v6, v7, v6, 2
	ds_bpermute_b32 v6, v6, v8
	s_and_saveexec_b32 s2, s0
	s_cbranch_execz .LBB98_2
; %bb.1:
	v_dual_cndmask_b32 v2, v4, v5 :: v_dual_add_nc_u32 v3, 4, v3
	s_waitcnt lgkmcnt(0)
	s_delay_alu instid0(VALU_DEP_1) | instskip(NEXT) | instid1(VALU_DEP_2)
	v_add_f16_e32 v4, v6, v2
	v_cmp_gt_u32_e32 vcc_lo, s1, v3
	s_delay_alu instid0(VALU_DEP_2)
	v_cndmask_b32_e32 v2, v2, v4, vcc_lo
.LBB98_2:
	s_or_b32 exec_lo, exec_lo, s2
	v_and_b32_e32 v0, 7, v0
	s_mov_b32 s0, exec_lo
	s_delay_alu instid0(VALU_DEP_1)
	v_cmpx_eq_u32_e32 0, v0
	s_cbranch_execz .LBB98_4
; %bb.3:
	v_lshrrev_b32_e32 v0, 2, v1
	s_delay_alu instid0(VALU_DEP_1)
	v_and_b32_e32 v0, 0x3ffffffe, v0
	global_store_b16 v0, v2, s[6:7]
.LBB98_4:
	s_nop 0
	s_sendmsg sendmsg(MSG_DEALLOC_VGPRS)
	s_endpgm
	.section	.rodata,"a",@progbits
	.p2align	6, 0x0
	.amdhsa_kernel _Z24warp_reduce_valid_kernelI6__halfLj32ELj8EENSt9enable_ifIXsr10test_utilsE35device_test_enabled_for_warp_size_vIXT1_EEEvE4typeEPT_S5_i
		.amdhsa_group_segment_fixed_size 0
		.amdhsa_private_segment_fixed_size 0
		.amdhsa_kernarg_size 280
		.amdhsa_user_sgpr_count 15
		.amdhsa_user_sgpr_dispatch_ptr 0
		.amdhsa_user_sgpr_queue_ptr 0
		.amdhsa_user_sgpr_kernarg_segment_ptr 1
		.amdhsa_user_sgpr_dispatch_id 0
		.amdhsa_user_sgpr_private_segment_size 0
		.amdhsa_wavefront_size32 1
		.amdhsa_uses_dynamic_stack 0
		.amdhsa_enable_private_segment 0
		.amdhsa_system_sgpr_workgroup_id_x 1
		.amdhsa_system_sgpr_workgroup_id_y 0
		.amdhsa_system_sgpr_workgroup_id_z 0
		.amdhsa_system_sgpr_workgroup_info 0
		.amdhsa_system_vgpr_workitem_id 0
		.amdhsa_next_free_vgpr 11
		.amdhsa_next_free_sgpr 16
		.amdhsa_reserve_vcc 1
		.amdhsa_float_round_mode_32 0
		.amdhsa_float_round_mode_16_64 0
		.amdhsa_float_denorm_mode_32 3
		.amdhsa_float_denorm_mode_16_64 3
		.amdhsa_dx10_clamp 1
		.amdhsa_ieee_mode 1
		.amdhsa_fp16_overflow 0
		.amdhsa_workgroup_processor_mode 1
		.amdhsa_memory_ordered 1
		.amdhsa_forward_progress 0
		.amdhsa_shared_vgpr_count 0
		.amdhsa_exception_fp_ieee_invalid_op 0
		.amdhsa_exception_fp_denorm_src 0
		.amdhsa_exception_fp_ieee_div_zero 0
		.amdhsa_exception_fp_ieee_overflow 0
		.amdhsa_exception_fp_ieee_underflow 0
		.amdhsa_exception_fp_ieee_inexact 0
		.amdhsa_exception_int_div_zero 0
	.end_amdhsa_kernel
	.section	.text._Z24warp_reduce_valid_kernelI6__halfLj32ELj8EENSt9enable_ifIXsr10test_utilsE35device_test_enabled_for_warp_size_vIXT1_EEEvE4typeEPT_S5_i,"axG",@progbits,_Z24warp_reduce_valid_kernelI6__halfLj32ELj8EENSt9enable_ifIXsr10test_utilsE35device_test_enabled_for_warp_size_vIXT1_EEEvE4typeEPT_S5_i,comdat
.Lfunc_end98:
	.size	_Z24warp_reduce_valid_kernelI6__halfLj32ELj8EENSt9enable_ifIXsr10test_utilsE35device_test_enabled_for_warp_size_vIXT1_EEEvE4typeEPT_S5_i, .Lfunc_end98-_Z24warp_reduce_valid_kernelI6__halfLj32ELj8EENSt9enable_ifIXsr10test_utilsE35device_test_enabled_for_warp_size_vIXT1_EEEvE4typeEPT_S5_i
                                        ; -- End function
	.section	.AMDGPU.csdata,"",@progbits
; Kernel info:
; codeLenInByte = 392
; NumSgprs: 18
; NumVgprs: 11
; ScratchSize: 0
; MemoryBound: 0
; FloatMode: 240
; IeeeMode: 1
; LDSByteSize: 0 bytes/workgroup (compile time only)
; SGPRBlocks: 2
; VGPRBlocks: 1
; NumSGPRsForWavesPerEU: 18
; NumVGPRsForWavesPerEU: 11
; Occupancy: 16
; WaveLimiterHint : 0
; COMPUTE_PGM_RSRC2:SCRATCH_EN: 0
; COMPUTE_PGM_RSRC2:USER_SGPR: 15
; COMPUTE_PGM_RSRC2:TRAP_HANDLER: 0
; COMPUTE_PGM_RSRC2:TGID_X_EN: 1
; COMPUTE_PGM_RSRC2:TGID_Y_EN: 0
; COMPUTE_PGM_RSRC2:TGID_Z_EN: 0
; COMPUTE_PGM_RSRC2:TIDIG_COMP_CNT: 0
	.section	.text._Z24warp_reduce_valid_kernelI6__halfLj64ELj8EENSt9enable_ifIXsr10test_utilsE35device_test_enabled_for_warp_size_vIXT1_EEEvE4typeEPT_S5_i,"axG",@progbits,_Z24warp_reduce_valid_kernelI6__halfLj64ELj8EENSt9enable_ifIXsr10test_utilsE35device_test_enabled_for_warp_size_vIXT1_EEEvE4typeEPT_S5_i,comdat
	.protected	_Z24warp_reduce_valid_kernelI6__halfLj64ELj8EENSt9enable_ifIXsr10test_utilsE35device_test_enabled_for_warp_size_vIXT1_EEEvE4typeEPT_S5_i ; -- Begin function _Z24warp_reduce_valid_kernelI6__halfLj64ELj8EENSt9enable_ifIXsr10test_utilsE35device_test_enabled_for_warp_size_vIXT1_EEEvE4typeEPT_S5_i
	.globl	_Z24warp_reduce_valid_kernelI6__halfLj64ELj8EENSt9enable_ifIXsr10test_utilsE35device_test_enabled_for_warp_size_vIXT1_EEEvE4typeEPT_S5_i
	.p2align	8
	.type	_Z24warp_reduce_valid_kernelI6__halfLj64ELj8EENSt9enable_ifIXsr10test_utilsE35device_test_enabled_for_warp_size_vIXT1_EEEvE4typeEPT_S5_i,@function
_Z24warp_reduce_valid_kernelI6__halfLj64ELj8EENSt9enable_ifIXsr10test_utilsE35device_test_enabled_for_warp_size_vIXT1_EEEvE4typeEPT_S5_i: ; @_Z24warp_reduce_valid_kernelI6__halfLj64ELj8EENSt9enable_ifIXsr10test_utilsE35device_test_enabled_for_warp_size_vIXT1_EEEvE4typeEPT_S5_i
; %bb.0:
	s_clause 0x1
	s_load_b32 s2, s[0:1], 0x24
	s_load_b128 s[4:7], s[0:1], 0x0
	v_mbcnt_lo_u32_b32 v6, -1, 0
	s_load_b32 s1, s[0:1], 0x10
	s_waitcnt lgkmcnt(0)
	s_and_b32 s2, s2, 0xffff
	s_delay_alu instid0(SALU_CYCLE_1) | instskip(SKIP_1) | instid1(VALU_DEP_1)
	v_mad_u64_u32 v[1:2], null, s15, s2, v[0:1]
	v_mov_b32_e32 v2, 0
	v_lshlrev_b64 v[2:3], 1, v[1:2]
	s_delay_alu instid0(VALU_DEP_1) | instskip(NEXT) | instid1(VALU_DEP_2)
	v_add_co_u32 v2, vcc_lo, s4, v2
	v_add_co_ci_u32_e32 v3, vcc_lo, s5, v3, vcc_lo
	global_load_u16 v2, v[2:3], off
	v_and_b32_e32 v3, 7, v6
	s_delay_alu instid0(VALU_DEP_1) | instskip(SKIP_3) | instid1(VALU_DEP_3)
	v_cmp_ne_u32_e32 vcc_lo, 7, v3
	v_add_nc_u32_e32 v8, 1, v3
	v_add_co_ci_u32_e32 v4, vcc_lo, 0, v6, vcc_lo
	v_cmp_gt_u32_e32 vcc_lo, 6, v3
	v_cmp_gt_u32_e64 s0, s1, v8
	s_delay_alu instid0(VALU_DEP_3)
	v_lshlrev_b32_e32 v4, 2, v4
	v_cndmask_b32_e64 v7, 0, 1, vcc_lo
	v_cmp_gt_u32_e32 vcc_lo, 4, v3
	s_waitcnt vmcnt(0)
	v_and_b32_e32 v5, 0xffff, v2
	ds_bpermute_b32 v4, v4, v5
	s_waitcnt lgkmcnt(0)
	v_add_f16_e32 v4, v2, v4
	s_delay_alu instid0(VALU_DEP_1) | instskip(NEXT) | instid1(VALU_DEP_1)
	v_and_b32_e32 v9, 0xffff, v4
	v_cndmask_b32_e64 v8, v5, v9, s0
	v_lshlrev_b32_e32 v7, 1, v7
	v_add_nc_u32_e32 v9, 2, v3
	s_delay_alu instid0(VALU_DEP_2) | instskip(SKIP_3) | instid1(VALU_DEP_1)
	v_add_lshl_u32 v7, v7, v6, 2
	ds_bpermute_b32 v5, v7, v8
	v_cndmask_b32_e64 v7, v2, v4, s0
	s_waitcnt lgkmcnt(0)
	v_add_f16_e32 v5, v5, v7
	v_cndmask_b32_e64 v7, 0, 1, vcc_lo
	v_cmp_gt_u32_e32 vcc_lo, s1, v9
	s_delay_alu instid0(VALU_DEP_3) | instskip(NEXT) | instid1(VALU_DEP_1)
	v_and_b32_e32 v10, 0xffff, v5
	v_dual_cndmask_b32 v8, v8, v10 :: v_dual_lshlrev_b32 v7, 2, v7
	s_delay_alu instid0(VALU_DEP_1)
	v_add_lshl_u32 v6, v7, v6, 2
	ds_bpermute_b32 v6, v6, v8
	s_and_saveexec_b32 s2, s0
	s_cbranch_execz .LBB99_2
; %bb.1:
	v_dual_cndmask_b32 v2, v4, v5 :: v_dual_add_nc_u32 v3, 4, v3
	s_waitcnt lgkmcnt(0)
	s_delay_alu instid0(VALU_DEP_1) | instskip(NEXT) | instid1(VALU_DEP_2)
	v_add_f16_e32 v4, v6, v2
	v_cmp_gt_u32_e32 vcc_lo, s1, v3
	s_delay_alu instid0(VALU_DEP_2)
	v_cndmask_b32_e32 v2, v2, v4, vcc_lo
.LBB99_2:
	s_or_b32 exec_lo, exec_lo, s2
	v_and_b32_e32 v0, 7, v0
	s_mov_b32 s0, exec_lo
	s_delay_alu instid0(VALU_DEP_1)
	v_cmpx_eq_u32_e32 0, v0
	s_cbranch_execz .LBB99_4
; %bb.3:
	v_lshrrev_b32_e32 v0, 2, v1
	s_delay_alu instid0(VALU_DEP_1)
	v_and_b32_e32 v0, 0x3ffffffe, v0
	global_store_b16 v0, v2, s[6:7]
.LBB99_4:
	s_nop 0
	s_sendmsg sendmsg(MSG_DEALLOC_VGPRS)
	s_endpgm
	.section	.rodata,"a",@progbits
	.p2align	6, 0x0
	.amdhsa_kernel _Z24warp_reduce_valid_kernelI6__halfLj64ELj8EENSt9enable_ifIXsr10test_utilsE35device_test_enabled_for_warp_size_vIXT1_EEEvE4typeEPT_S5_i
		.amdhsa_group_segment_fixed_size 0
		.amdhsa_private_segment_fixed_size 0
		.amdhsa_kernarg_size 280
		.amdhsa_user_sgpr_count 15
		.amdhsa_user_sgpr_dispatch_ptr 0
		.amdhsa_user_sgpr_queue_ptr 0
		.amdhsa_user_sgpr_kernarg_segment_ptr 1
		.amdhsa_user_sgpr_dispatch_id 0
		.amdhsa_user_sgpr_private_segment_size 0
		.amdhsa_wavefront_size32 1
		.amdhsa_uses_dynamic_stack 0
		.amdhsa_enable_private_segment 0
		.amdhsa_system_sgpr_workgroup_id_x 1
		.amdhsa_system_sgpr_workgroup_id_y 0
		.amdhsa_system_sgpr_workgroup_id_z 0
		.amdhsa_system_sgpr_workgroup_info 0
		.amdhsa_system_vgpr_workitem_id 0
		.amdhsa_next_free_vgpr 11
		.amdhsa_next_free_sgpr 16
		.amdhsa_reserve_vcc 1
		.amdhsa_float_round_mode_32 0
		.amdhsa_float_round_mode_16_64 0
		.amdhsa_float_denorm_mode_32 3
		.amdhsa_float_denorm_mode_16_64 3
		.amdhsa_dx10_clamp 1
		.amdhsa_ieee_mode 1
		.amdhsa_fp16_overflow 0
		.amdhsa_workgroup_processor_mode 1
		.amdhsa_memory_ordered 1
		.amdhsa_forward_progress 0
		.amdhsa_shared_vgpr_count 0
		.amdhsa_exception_fp_ieee_invalid_op 0
		.amdhsa_exception_fp_denorm_src 0
		.amdhsa_exception_fp_ieee_div_zero 0
		.amdhsa_exception_fp_ieee_overflow 0
		.amdhsa_exception_fp_ieee_underflow 0
		.amdhsa_exception_fp_ieee_inexact 0
		.amdhsa_exception_int_div_zero 0
	.end_amdhsa_kernel
	.section	.text._Z24warp_reduce_valid_kernelI6__halfLj64ELj8EENSt9enable_ifIXsr10test_utilsE35device_test_enabled_for_warp_size_vIXT1_EEEvE4typeEPT_S5_i,"axG",@progbits,_Z24warp_reduce_valid_kernelI6__halfLj64ELj8EENSt9enable_ifIXsr10test_utilsE35device_test_enabled_for_warp_size_vIXT1_EEEvE4typeEPT_S5_i,comdat
.Lfunc_end99:
	.size	_Z24warp_reduce_valid_kernelI6__halfLj64ELj8EENSt9enable_ifIXsr10test_utilsE35device_test_enabled_for_warp_size_vIXT1_EEEvE4typeEPT_S5_i, .Lfunc_end99-_Z24warp_reduce_valid_kernelI6__halfLj64ELj8EENSt9enable_ifIXsr10test_utilsE35device_test_enabled_for_warp_size_vIXT1_EEEvE4typeEPT_S5_i
                                        ; -- End function
	.section	.AMDGPU.csdata,"",@progbits
; Kernel info:
; codeLenInByte = 392
; NumSgprs: 18
; NumVgprs: 11
; ScratchSize: 0
; MemoryBound: 0
; FloatMode: 240
; IeeeMode: 1
; LDSByteSize: 0 bytes/workgroup (compile time only)
; SGPRBlocks: 2
; VGPRBlocks: 1
; NumSGPRsForWavesPerEU: 18
; NumVGPRsForWavesPerEU: 11
; Occupancy: 16
; WaveLimiterHint : 0
; COMPUTE_PGM_RSRC2:SCRATCH_EN: 0
; COMPUTE_PGM_RSRC2:USER_SGPR: 15
; COMPUTE_PGM_RSRC2:TRAP_HANDLER: 0
; COMPUTE_PGM_RSRC2:TGID_X_EN: 1
; COMPUTE_PGM_RSRC2:TGID_Y_EN: 0
; COMPUTE_PGM_RSRC2:TGID_Z_EN: 0
; COMPUTE_PGM_RSRC2:TIDIG_COMP_CNT: 0
	.section	.text._Z24warp_reduce_valid_kernelI6__halfLj32ELj4EENSt9enable_ifIXsr10test_utilsE35device_test_enabled_for_warp_size_vIXT1_EEEvE4typeEPT_S5_i,"axG",@progbits,_Z24warp_reduce_valid_kernelI6__halfLj32ELj4EENSt9enable_ifIXsr10test_utilsE35device_test_enabled_for_warp_size_vIXT1_EEEvE4typeEPT_S5_i,comdat
	.protected	_Z24warp_reduce_valid_kernelI6__halfLj32ELj4EENSt9enable_ifIXsr10test_utilsE35device_test_enabled_for_warp_size_vIXT1_EEEvE4typeEPT_S5_i ; -- Begin function _Z24warp_reduce_valid_kernelI6__halfLj32ELj4EENSt9enable_ifIXsr10test_utilsE35device_test_enabled_for_warp_size_vIXT1_EEEvE4typeEPT_S5_i
	.globl	_Z24warp_reduce_valid_kernelI6__halfLj32ELj4EENSt9enable_ifIXsr10test_utilsE35device_test_enabled_for_warp_size_vIXT1_EEEvE4typeEPT_S5_i
	.p2align	8
	.type	_Z24warp_reduce_valid_kernelI6__halfLj32ELj4EENSt9enable_ifIXsr10test_utilsE35device_test_enabled_for_warp_size_vIXT1_EEEvE4typeEPT_S5_i,@function
_Z24warp_reduce_valid_kernelI6__halfLj32ELj4EENSt9enable_ifIXsr10test_utilsE35device_test_enabled_for_warp_size_vIXT1_EEEvE4typeEPT_S5_i: ; @_Z24warp_reduce_valid_kernelI6__halfLj32ELj4EENSt9enable_ifIXsr10test_utilsE35device_test_enabled_for_warp_size_vIXT1_EEEvE4typeEPT_S5_i
; %bb.0:
	s_clause 0x1
	s_load_b32 s2, s[0:1], 0x24
	s_load_b128 s[4:7], s[0:1], 0x0
	v_mbcnt_lo_u32_b32 v5, -1, 0
	s_load_b32 s1, s[0:1], 0x10
	s_waitcnt lgkmcnt(0)
	s_and_b32 s2, s2, 0xffff
	s_delay_alu instid0(SALU_CYCLE_1) | instskip(SKIP_3) | instid1(VALU_DEP_2)
	v_mad_u64_u32 v[1:2], null, s15, s2, v[0:1]
	v_mov_b32_e32 v2, 0
	v_and_b32_e32 v0, 3, v0
	s_mov_b32 s2, exec_lo
	v_lshlrev_b64 v[2:3], 1, v[1:2]
	s_delay_alu instid0(VALU_DEP_1) | instskip(NEXT) | instid1(VALU_DEP_2)
	v_add_co_u32 v2, vcc_lo, s4, v2
	v_add_co_ci_u32_e32 v3, vcc_lo, s5, v3, vcc_lo
	global_load_u16 v2, v[2:3], off
	v_and_b32_e32 v3, 3, v5
	s_delay_alu instid0(VALU_DEP_1) | instskip(SKIP_3) | instid1(VALU_DEP_2)
	v_cmp_ne_u32_e32 vcc_lo, 3, v3
	v_add_nc_u32_e32 v8, 1, v3
	v_add_co_ci_u32_e32 v4, vcc_lo, 0, v5, vcc_lo
	v_cmp_gt_u32_e32 vcc_lo, 2, v3
	v_lshlrev_b32_e32 v4, 2, v4
	v_cndmask_b32_e64 v7, 0, 1, vcc_lo
	v_cmp_gt_u32_e32 vcc_lo, s1, v8
	s_waitcnt vmcnt(0)
	v_and_b32_e32 v6, 0xffff, v2
	ds_bpermute_b32 v4, v4, v6
	s_waitcnt lgkmcnt(0)
	v_add_f16_e32 v4, v2, v4
	s_delay_alu instid0(VALU_DEP_1) | instskip(NEXT) | instid1(VALU_DEP_1)
	v_and_b32_e32 v9, 0xffff, v4
	v_dual_cndmask_b32 v6, v6, v9 :: v_dual_lshlrev_b32 v7, 1, v7
	s_delay_alu instid0(VALU_DEP_1)
	v_add_lshl_u32 v5, v7, v5, 2
	ds_bpermute_b32 v5, v5, v6
	v_cmpx_eq_u32_e32 0, v0
	s_cbranch_execz .LBB100_2
; %bb.1:
	v_add_nc_u32_e32 v0, 2, v3
	s_waitcnt lgkmcnt(0)
	v_add_f16_e32 v3, v4, v5
	v_lshrrev_b32_e32 v1, 1, v1
	s_delay_alu instid0(VALU_DEP_3) | instskip(NEXT) | instid1(VALU_DEP_1)
	v_cmp_gt_u32_e64 s0, s1, v0
	v_cndmask_b32_e64 v0, v4, v3, s0
	s_delay_alu instid0(VALU_DEP_1)
	v_dual_cndmask_b32 v0, v2, v0 :: v_dual_and_b32 v1, 0x7ffffffe, v1
	global_store_b16 v1, v0, s[6:7]
.LBB100_2:
	s_nop 0
	s_sendmsg sendmsg(MSG_DEALLOC_VGPRS)
	s_endpgm
	.section	.rodata,"a",@progbits
	.p2align	6, 0x0
	.amdhsa_kernel _Z24warp_reduce_valid_kernelI6__halfLj32ELj4EENSt9enable_ifIXsr10test_utilsE35device_test_enabled_for_warp_size_vIXT1_EEEvE4typeEPT_S5_i
		.amdhsa_group_segment_fixed_size 0
		.amdhsa_private_segment_fixed_size 0
		.amdhsa_kernarg_size 280
		.amdhsa_user_sgpr_count 15
		.amdhsa_user_sgpr_dispatch_ptr 0
		.amdhsa_user_sgpr_queue_ptr 0
		.amdhsa_user_sgpr_kernarg_segment_ptr 1
		.amdhsa_user_sgpr_dispatch_id 0
		.amdhsa_user_sgpr_private_segment_size 0
		.amdhsa_wavefront_size32 1
		.amdhsa_uses_dynamic_stack 0
		.amdhsa_enable_private_segment 0
		.amdhsa_system_sgpr_workgroup_id_x 1
		.amdhsa_system_sgpr_workgroup_id_y 0
		.amdhsa_system_sgpr_workgroup_id_z 0
		.amdhsa_system_sgpr_workgroup_info 0
		.amdhsa_system_vgpr_workitem_id 0
		.amdhsa_next_free_vgpr 10
		.amdhsa_next_free_sgpr 16
		.amdhsa_reserve_vcc 1
		.amdhsa_float_round_mode_32 0
		.amdhsa_float_round_mode_16_64 0
		.amdhsa_float_denorm_mode_32 3
		.amdhsa_float_denorm_mode_16_64 3
		.amdhsa_dx10_clamp 1
		.amdhsa_ieee_mode 1
		.amdhsa_fp16_overflow 0
		.amdhsa_workgroup_processor_mode 1
		.amdhsa_memory_ordered 1
		.amdhsa_forward_progress 0
		.amdhsa_shared_vgpr_count 0
		.amdhsa_exception_fp_ieee_invalid_op 0
		.amdhsa_exception_fp_denorm_src 0
		.amdhsa_exception_fp_ieee_div_zero 0
		.amdhsa_exception_fp_ieee_overflow 0
		.amdhsa_exception_fp_ieee_underflow 0
		.amdhsa_exception_fp_ieee_inexact 0
		.amdhsa_exception_int_div_zero 0
	.end_amdhsa_kernel
	.section	.text._Z24warp_reduce_valid_kernelI6__halfLj32ELj4EENSt9enable_ifIXsr10test_utilsE35device_test_enabled_for_warp_size_vIXT1_EEEvE4typeEPT_S5_i,"axG",@progbits,_Z24warp_reduce_valid_kernelI6__halfLj32ELj4EENSt9enable_ifIXsr10test_utilsE35device_test_enabled_for_warp_size_vIXT1_EEEvE4typeEPT_S5_i,comdat
.Lfunc_end100:
	.size	_Z24warp_reduce_valid_kernelI6__halfLj32ELj4EENSt9enable_ifIXsr10test_utilsE35device_test_enabled_for_warp_size_vIXT1_EEEvE4typeEPT_S5_i, .Lfunc_end100-_Z24warp_reduce_valid_kernelI6__halfLj32ELj4EENSt9enable_ifIXsr10test_utilsE35device_test_enabled_for_warp_size_vIXT1_EEEvE4typeEPT_S5_i
                                        ; -- End function
	.section	.AMDGPU.csdata,"",@progbits
; Kernel info:
; codeLenInByte = 292
; NumSgprs: 18
; NumVgprs: 10
; ScratchSize: 0
; MemoryBound: 0
; FloatMode: 240
; IeeeMode: 1
; LDSByteSize: 0 bytes/workgroup (compile time only)
; SGPRBlocks: 2
; VGPRBlocks: 1
; NumSGPRsForWavesPerEU: 18
; NumVGPRsForWavesPerEU: 10
; Occupancy: 16
; WaveLimiterHint : 0
; COMPUTE_PGM_RSRC2:SCRATCH_EN: 0
; COMPUTE_PGM_RSRC2:USER_SGPR: 15
; COMPUTE_PGM_RSRC2:TRAP_HANDLER: 0
; COMPUTE_PGM_RSRC2:TGID_X_EN: 1
; COMPUTE_PGM_RSRC2:TGID_Y_EN: 0
; COMPUTE_PGM_RSRC2:TGID_Z_EN: 0
; COMPUTE_PGM_RSRC2:TIDIG_COMP_CNT: 0
	.section	.text._Z24warp_reduce_valid_kernelI6__halfLj64ELj4EENSt9enable_ifIXsr10test_utilsE35device_test_enabled_for_warp_size_vIXT1_EEEvE4typeEPT_S5_i,"axG",@progbits,_Z24warp_reduce_valid_kernelI6__halfLj64ELj4EENSt9enable_ifIXsr10test_utilsE35device_test_enabled_for_warp_size_vIXT1_EEEvE4typeEPT_S5_i,comdat
	.protected	_Z24warp_reduce_valid_kernelI6__halfLj64ELj4EENSt9enable_ifIXsr10test_utilsE35device_test_enabled_for_warp_size_vIXT1_EEEvE4typeEPT_S5_i ; -- Begin function _Z24warp_reduce_valid_kernelI6__halfLj64ELj4EENSt9enable_ifIXsr10test_utilsE35device_test_enabled_for_warp_size_vIXT1_EEEvE4typeEPT_S5_i
	.globl	_Z24warp_reduce_valid_kernelI6__halfLj64ELj4EENSt9enable_ifIXsr10test_utilsE35device_test_enabled_for_warp_size_vIXT1_EEEvE4typeEPT_S5_i
	.p2align	8
	.type	_Z24warp_reduce_valid_kernelI6__halfLj64ELj4EENSt9enable_ifIXsr10test_utilsE35device_test_enabled_for_warp_size_vIXT1_EEEvE4typeEPT_S5_i,@function
_Z24warp_reduce_valid_kernelI6__halfLj64ELj4EENSt9enable_ifIXsr10test_utilsE35device_test_enabled_for_warp_size_vIXT1_EEEvE4typeEPT_S5_i: ; @_Z24warp_reduce_valid_kernelI6__halfLj64ELj4EENSt9enable_ifIXsr10test_utilsE35device_test_enabled_for_warp_size_vIXT1_EEEvE4typeEPT_S5_i
; %bb.0:
	s_clause 0x1
	s_load_b32 s2, s[0:1], 0x24
	s_load_b128 s[4:7], s[0:1], 0x0
	v_mbcnt_lo_u32_b32 v5, -1, 0
	s_load_b32 s1, s[0:1], 0x10
	s_waitcnt lgkmcnt(0)
	s_and_b32 s2, s2, 0xffff
	s_delay_alu instid0(SALU_CYCLE_1) | instskip(SKIP_3) | instid1(VALU_DEP_2)
	v_mad_u64_u32 v[1:2], null, s15, s2, v[0:1]
	v_mov_b32_e32 v2, 0
	v_and_b32_e32 v0, 3, v0
	s_mov_b32 s2, exec_lo
	v_lshlrev_b64 v[2:3], 1, v[1:2]
	s_delay_alu instid0(VALU_DEP_1) | instskip(NEXT) | instid1(VALU_DEP_2)
	v_add_co_u32 v2, vcc_lo, s4, v2
	v_add_co_ci_u32_e32 v3, vcc_lo, s5, v3, vcc_lo
	global_load_u16 v2, v[2:3], off
	v_and_b32_e32 v3, 3, v5
	s_delay_alu instid0(VALU_DEP_1) | instskip(SKIP_3) | instid1(VALU_DEP_2)
	v_cmp_ne_u32_e32 vcc_lo, 3, v3
	v_add_nc_u32_e32 v8, 1, v3
	v_add_co_ci_u32_e32 v4, vcc_lo, 0, v5, vcc_lo
	v_cmp_gt_u32_e32 vcc_lo, 2, v3
	v_lshlrev_b32_e32 v4, 2, v4
	v_cndmask_b32_e64 v7, 0, 1, vcc_lo
	v_cmp_gt_u32_e32 vcc_lo, s1, v8
	s_waitcnt vmcnt(0)
	v_and_b32_e32 v6, 0xffff, v2
	ds_bpermute_b32 v4, v4, v6
	s_waitcnt lgkmcnt(0)
	v_add_f16_e32 v4, v2, v4
	s_delay_alu instid0(VALU_DEP_1) | instskip(NEXT) | instid1(VALU_DEP_1)
	v_and_b32_e32 v9, 0xffff, v4
	v_dual_cndmask_b32 v6, v6, v9 :: v_dual_lshlrev_b32 v7, 1, v7
	s_delay_alu instid0(VALU_DEP_1)
	v_add_lshl_u32 v5, v7, v5, 2
	ds_bpermute_b32 v5, v5, v6
	v_cmpx_eq_u32_e32 0, v0
	s_cbranch_execz .LBB101_2
; %bb.1:
	v_add_nc_u32_e32 v0, 2, v3
	s_waitcnt lgkmcnt(0)
	v_add_f16_e32 v3, v4, v5
	v_lshrrev_b32_e32 v1, 1, v1
	s_delay_alu instid0(VALU_DEP_3) | instskip(NEXT) | instid1(VALU_DEP_1)
	v_cmp_gt_u32_e64 s0, s1, v0
	v_cndmask_b32_e64 v0, v4, v3, s0
	s_delay_alu instid0(VALU_DEP_1)
	v_dual_cndmask_b32 v0, v2, v0 :: v_dual_and_b32 v1, 0x7ffffffe, v1
	global_store_b16 v1, v0, s[6:7]
.LBB101_2:
	s_nop 0
	s_sendmsg sendmsg(MSG_DEALLOC_VGPRS)
	s_endpgm
	.section	.rodata,"a",@progbits
	.p2align	6, 0x0
	.amdhsa_kernel _Z24warp_reduce_valid_kernelI6__halfLj64ELj4EENSt9enable_ifIXsr10test_utilsE35device_test_enabled_for_warp_size_vIXT1_EEEvE4typeEPT_S5_i
		.amdhsa_group_segment_fixed_size 0
		.amdhsa_private_segment_fixed_size 0
		.amdhsa_kernarg_size 280
		.amdhsa_user_sgpr_count 15
		.amdhsa_user_sgpr_dispatch_ptr 0
		.amdhsa_user_sgpr_queue_ptr 0
		.amdhsa_user_sgpr_kernarg_segment_ptr 1
		.amdhsa_user_sgpr_dispatch_id 0
		.amdhsa_user_sgpr_private_segment_size 0
		.amdhsa_wavefront_size32 1
		.amdhsa_uses_dynamic_stack 0
		.amdhsa_enable_private_segment 0
		.amdhsa_system_sgpr_workgroup_id_x 1
		.amdhsa_system_sgpr_workgroup_id_y 0
		.amdhsa_system_sgpr_workgroup_id_z 0
		.amdhsa_system_sgpr_workgroup_info 0
		.amdhsa_system_vgpr_workitem_id 0
		.amdhsa_next_free_vgpr 10
		.amdhsa_next_free_sgpr 16
		.amdhsa_reserve_vcc 1
		.amdhsa_float_round_mode_32 0
		.amdhsa_float_round_mode_16_64 0
		.amdhsa_float_denorm_mode_32 3
		.amdhsa_float_denorm_mode_16_64 3
		.amdhsa_dx10_clamp 1
		.amdhsa_ieee_mode 1
		.amdhsa_fp16_overflow 0
		.amdhsa_workgroup_processor_mode 1
		.amdhsa_memory_ordered 1
		.amdhsa_forward_progress 0
		.amdhsa_shared_vgpr_count 0
		.amdhsa_exception_fp_ieee_invalid_op 0
		.amdhsa_exception_fp_denorm_src 0
		.amdhsa_exception_fp_ieee_div_zero 0
		.amdhsa_exception_fp_ieee_overflow 0
		.amdhsa_exception_fp_ieee_underflow 0
		.amdhsa_exception_fp_ieee_inexact 0
		.amdhsa_exception_int_div_zero 0
	.end_amdhsa_kernel
	.section	.text._Z24warp_reduce_valid_kernelI6__halfLj64ELj4EENSt9enable_ifIXsr10test_utilsE35device_test_enabled_for_warp_size_vIXT1_EEEvE4typeEPT_S5_i,"axG",@progbits,_Z24warp_reduce_valid_kernelI6__halfLj64ELj4EENSt9enable_ifIXsr10test_utilsE35device_test_enabled_for_warp_size_vIXT1_EEEvE4typeEPT_S5_i,comdat
.Lfunc_end101:
	.size	_Z24warp_reduce_valid_kernelI6__halfLj64ELj4EENSt9enable_ifIXsr10test_utilsE35device_test_enabled_for_warp_size_vIXT1_EEEvE4typeEPT_S5_i, .Lfunc_end101-_Z24warp_reduce_valid_kernelI6__halfLj64ELj4EENSt9enable_ifIXsr10test_utilsE35device_test_enabled_for_warp_size_vIXT1_EEEvE4typeEPT_S5_i
                                        ; -- End function
	.section	.AMDGPU.csdata,"",@progbits
; Kernel info:
; codeLenInByte = 292
; NumSgprs: 18
; NumVgprs: 10
; ScratchSize: 0
; MemoryBound: 0
; FloatMode: 240
; IeeeMode: 1
; LDSByteSize: 0 bytes/workgroup (compile time only)
; SGPRBlocks: 2
; VGPRBlocks: 1
; NumSGPRsForWavesPerEU: 18
; NumVGPRsForWavesPerEU: 10
; Occupancy: 16
; WaveLimiterHint : 0
; COMPUTE_PGM_RSRC2:SCRATCH_EN: 0
; COMPUTE_PGM_RSRC2:USER_SGPR: 15
; COMPUTE_PGM_RSRC2:TRAP_HANDLER: 0
; COMPUTE_PGM_RSRC2:TGID_X_EN: 1
; COMPUTE_PGM_RSRC2:TGID_Y_EN: 0
; COMPUTE_PGM_RSRC2:TGID_Z_EN: 0
; COMPUTE_PGM_RSRC2:TIDIG_COMP_CNT: 0
	.section	.text._Z24warp_reduce_valid_kernelI6__halfLj32ELj2EENSt9enable_ifIXsr10test_utilsE35device_test_enabled_for_warp_size_vIXT1_EEEvE4typeEPT_S5_i,"axG",@progbits,_Z24warp_reduce_valid_kernelI6__halfLj32ELj2EENSt9enable_ifIXsr10test_utilsE35device_test_enabled_for_warp_size_vIXT1_EEEvE4typeEPT_S5_i,comdat
	.protected	_Z24warp_reduce_valid_kernelI6__halfLj32ELj2EENSt9enable_ifIXsr10test_utilsE35device_test_enabled_for_warp_size_vIXT1_EEEvE4typeEPT_S5_i ; -- Begin function _Z24warp_reduce_valid_kernelI6__halfLj32ELj2EENSt9enable_ifIXsr10test_utilsE35device_test_enabled_for_warp_size_vIXT1_EEEvE4typeEPT_S5_i
	.globl	_Z24warp_reduce_valid_kernelI6__halfLj32ELj2EENSt9enable_ifIXsr10test_utilsE35device_test_enabled_for_warp_size_vIXT1_EEEvE4typeEPT_S5_i
	.p2align	8
	.type	_Z24warp_reduce_valid_kernelI6__halfLj32ELj2EENSt9enable_ifIXsr10test_utilsE35device_test_enabled_for_warp_size_vIXT1_EEEvE4typeEPT_S5_i,@function
_Z24warp_reduce_valid_kernelI6__halfLj32ELj2EENSt9enable_ifIXsr10test_utilsE35device_test_enabled_for_warp_size_vIXT1_EEEvE4typeEPT_S5_i: ; @_Z24warp_reduce_valid_kernelI6__halfLj32ELj2EENSt9enable_ifIXsr10test_utilsE35device_test_enabled_for_warp_size_vIXT1_EEEvE4typeEPT_S5_i
; %bb.0:
	s_clause 0x1
	s_load_b32 s2, s[0:1], 0x24
	s_load_b128 s[4:7], s[0:1], 0x0
	s_waitcnt lgkmcnt(0)
	s_and_b32 s2, s2, 0xffff
	s_delay_alu instid0(SALU_CYCLE_1) | instskip(SKIP_3) | instid1(VALU_DEP_2)
	v_mad_u64_u32 v[1:2], null, s15, s2, v[0:1]
	v_mov_b32_e32 v2, 0
	v_and_b32_e32 v0, 1, v0
	s_mov_b32 s2, exec_lo
	v_lshlrev_b64 v[2:3], 1, v[1:2]
	s_delay_alu instid0(VALU_DEP_1) | instskip(NEXT) | instid1(VALU_DEP_2)
	v_add_co_u32 v2, vcc_lo, s4, v2
	v_add_co_ci_u32_e32 v3, vcc_lo, s5, v3, vcc_lo
	global_load_u16 v2, v[2:3], off
	v_mbcnt_lo_u32_b32 v3, -1, 0
	s_delay_alu instid0(VALU_DEP_1)
	v_lshl_or_b32 v5, v3, 2, 4
	s_waitcnt vmcnt(0)
	v_and_b32_e32 v4, 0xffff, v2
	ds_bpermute_b32 v4, v5, v4
	v_cmpx_eq_u32_e32 0, v0
	s_cbranch_execz .LBB102_2
; %bb.1:
	s_load_b32 s0, s[0:1], 0x10
	v_and_b32_e32 v0, 1, v3
	s_waitcnt lgkmcnt(0)
	v_add_f16_e32 v3, v2, v4
	s_delay_alu instid0(VALU_DEP_2) | instskip(NEXT) | instid1(VALU_DEP_1)
	v_add_nc_u32_e32 v0, 1, v0
	v_cmp_gt_u32_e32 vcc_lo, s0, v0
	s_delay_alu instid0(VALU_DEP_3)
	v_dual_cndmask_b32 v0, v2, v3 :: v_dual_and_b32 v1, -2, v1
	global_store_b16 v1, v0, s[6:7]
.LBB102_2:
	s_nop 0
	s_sendmsg sendmsg(MSG_DEALLOC_VGPRS)
	s_endpgm
	.section	.rodata,"a",@progbits
	.p2align	6, 0x0
	.amdhsa_kernel _Z24warp_reduce_valid_kernelI6__halfLj32ELj2EENSt9enable_ifIXsr10test_utilsE35device_test_enabled_for_warp_size_vIXT1_EEEvE4typeEPT_S5_i
		.amdhsa_group_segment_fixed_size 0
		.amdhsa_private_segment_fixed_size 0
		.amdhsa_kernarg_size 280
		.amdhsa_user_sgpr_count 15
		.amdhsa_user_sgpr_dispatch_ptr 0
		.amdhsa_user_sgpr_queue_ptr 0
		.amdhsa_user_sgpr_kernarg_segment_ptr 1
		.amdhsa_user_sgpr_dispatch_id 0
		.amdhsa_user_sgpr_private_segment_size 0
		.amdhsa_wavefront_size32 1
		.amdhsa_uses_dynamic_stack 0
		.amdhsa_enable_private_segment 0
		.amdhsa_system_sgpr_workgroup_id_x 1
		.amdhsa_system_sgpr_workgroup_id_y 0
		.amdhsa_system_sgpr_workgroup_id_z 0
		.amdhsa_system_sgpr_workgroup_info 0
		.amdhsa_system_vgpr_workitem_id 0
		.amdhsa_next_free_vgpr 6
		.amdhsa_next_free_sgpr 16
		.amdhsa_reserve_vcc 1
		.amdhsa_float_round_mode_32 0
		.amdhsa_float_round_mode_16_64 0
		.amdhsa_float_denorm_mode_32 3
		.amdhsa_float_denorm_mode_16_64 3
		.amdhsa_dx10_clamp 1
		.amdhsa_ieee_mode 1
		.amdhsa_fp16_overflow 0
		.amdhsa_workgroup_processor_mode 1
		.amdhsa_memory_ordered 1
		.amdhsa_forward_progress 0
		.amdhsa_shared_vgpr_count 0
		.amdhsa_exception_fp_ieee_invalid_op 0
		.amdhsa_exception_fp_denorm_src 0
		.amdhsa_exception_fp_ieee_div_zero 0
		.amdhsa_exception_fp_ieee_overflow 0
		.amdhsa_exception_fp_ieee_underflow 0
		.amdhsa_exception_fp_ieee_inexact 0
		.amdhsa_exception_int_div_zero 0
	.end_amdhsa_kernel
	.section	.text._Z24warp_reduce_valid_kernelI6__halfLj32ELj2EENSt9enable_ifIXsr10test_utilsE35device_test_enabled_for_warp_size_vIXT1_EEEvE4typeEPT_S5_i,"axG",@progbits,_Z24warp_reduce_valid_kernelI6__halfLj32ELj2EENSt9enable_ifIXsr10test_utilsE35device_test_enabled_for_warp_size_vIXT1_EEEvE4typeEPT_S5_i,comdat
.Lfunc_end102:
	.size	_Z24warp_reduce_valid_kernelI6__halfLj32ELj2EENSt9enable_ifIXsr10test_utilsE35device_test_enabled_for_warp_size_vIXT1_EEEvE4typeEPT_S5_i, .Lfunc_end102-_Z24warp_reduce_valid_kernelI6__halfLj32ELj2EENSt9enable_ifIXsr10test_utilsE35device_test_enabled_for_warp_size_vIXT1_EEEvE4typeEPT_S5_i
                                        ; -- End function
	.section	.AMDGPU.csdata,"",@progbits
; Kernel info:
; codeLenInByte = 200
; NumSgprs: 18
; NumVgprs: 6
; ScratchSize: 0
; MemoryBound: 0
; FloatMode: 240
; IeeeMode: 1
; LDSByteSize: 0 bytes/workgroup (compile time only)
; SGPRBlocks: 2
; VGPRBlocks: 0
; NumSGPRsForWavesPerEU: 18
; NumVGPRsForWavesPerEU: 6
; Occupancy: 16
; WaveLimiterHint : 0
; COMPUTE_PGM_RSRC2:SCRATCH_EN: 0
; COMPUTE_PGM_RSRC2:USER_SGPR: 15
; COMPUTE_PGM_RSRC2:TRAP_HANDLER: 0
; COMPUTE_PGM_RSRC2:TGID_X_EN: 1
; COMPUTE_PGM_RSRC2:TGID_Y_EN: 0
; COMPUTE_PGM_RSRC2:TGID_Z_EN: 0
; COMPUTE_PGM_RSRC2:TIDIG_COMP_CNT: 0
	.section	.text._Z24warp_reduce_valid_kernelI6__halfLj64ELj2EENSt9enable_ifIXsr10test_utilsE35device_test_enabled_for_warp_size_vIXT1_EEEvE4typeEPT_S5_i,"axG",@progbits,_Z24warp_reduce_valid_kernelI6__halfLj64ELj2EENSt9enable_ifIXsr10test_utilsE35device_test_enabled_for_warp_size_vIXT1_EEEvE4typeEPT_S5_i,comdat
	.protected	_Z24warp_reduce_valid_kernelI6__halfLj64ELj2EENSt9enable_ifIXsr10test_utilsE35device_test_enabled_for_warp_size_vIXT1_EEEvE4typeEPT_S5_i ; -- Begin function _Z24warp_reduce_valid_kernelI6__halfLj64ELj2EENSt9enable_ifIXsr10test_utilsE35device_test_enabled_for_warp_size_vIXT1_EEEvE4typeEPT_S5_i
	.globl	_Z24warp_reduce_valid_kernelI6__halfLj64ELj2EENSt9enable_ifIXsr10test_utilsE35device_test_enabled_for_warp_size_vIXT1_EEEvE4typeEPT_S5_i
	.p2align	8
	.type	_Z24warp_reduce_valid_kernelI6__halfLj64ELj2EENSt9enable_ifIXsr10test_utilsE35device_test_enabled_for_warp_size_vIXT1_EEEvE4typeEPT_S5_i,@function
_Z24warp_reduce_valid_kernelI6__halfLj64ELj2EENSt9enable_ifIXsr10test_utilsE35device_test_enabled_for_warp_size_vIXT1_EEEvE4typeEPT_S5_i: ; @_Z24warp_reduce_valid_kernelI6__halfLj64ELj2EENSt9enable_ifIXsr10test_utilsE35device_test_enabled_for_warp_size_vIXT1_EEEvE4typeEPT_S5_i
; %bb.0:
	s_clause 0x1
	s_load_b32 s2, s[0:1], 0x24
	s_load_b128 s[4:7], s[0:1], 0x0
	s_waitcnt lgkmcnt(0)
	s_and_b32 s2, s2, 0xffff
	s_delay_alu instid0(SALU_CYCLE_1) | instskip(SKIP_3) | instid1(VALU_DEP_2)
	v_mad_u64_u32 v[1:2], null, s15, s2, v[0:1]
	v_mov_b32_e32 v2, 0
	v_and_b32_e32 v0, 1, v0
	s_mov_b32 s2, exec_lo
	v_lshlrev_b64 v[2:3], 1, v[1:2]
	s_delay_alu instid0(VALU_DEP_1) | instskip(NEXT) | instid1(VALU_DEP_2)
	v_add_co_u32 v2, vcc_lo, s4, v2
	v_add_co_ci_u32_e32 v3, vcc_lo, s5, v3, vcc_lo
	global_load_u16 v2, v[2:3], off
	v_mbcnt_lo_u32_b32 v3, -1, 0
	s_delay_alu instid0(VALU_DEP_1)
	v_lshl_or_b32 v5, v3, 2, 4
	s_waitcnt vmcnt(0)
	v_and_b32_e32 v4, 0xffff, v2
	ds_bpermute_b32 v4, v5, v4
	v_cmpx_eq_u32_e32 0, v0
	s_cbranch_execz .LBB103_2
; %bb.1:
	s_load_b32 s0, s[0:1], 0x10
	v_and_b32_e32 v0, 1, v3
	s_waitcnt lgkmcnt(0)
	v_add_f16_e32 v3, v2, v4
	s_delay_alu instid0(VALU_DEP_2) | instskip(NEXT) | instid1(VALU_DEP_1)
	v_add_nc_u32_e32 v0, 1, v0
	v_cmp_gt_u32_e32 vcc_lo, s0, v0
	s_delay_alu instid0(VALU_DEP_3)
	v_dual_cndmask_b32 v0, v2, v3 :: v_dual_and_b32 v1, -2, v1
	global_store_b16 v1, v0, s[6:7]
.LBB103_2:
	s_nop 0
	s_sendmsg sendmsg(MSG_DEALLOC_VGPRS)
	s_endpgm
	.section	.rodata,"a",@progbits
	.p2align	6, 0x0
	.amdhsa_kernel _Z24warp_reduce_valid_kernelI6__halfLj64ELj2EENSt9enable_ifIXsr10test_utilsE35device_test_enabled_for_warp_size_vIXT1_EEEvE4typeEPT_S5_i
		.amdhsa_group_segment_fixed_size 0
		.amdhsa_private_segment_fixed_size 0
		.amdhsa_kernarg_size 280
		.amdhsa_user_sgpr_count 15
		.amdhsa_user_sgpr_dispatch_ptr 0
		.amdhsa_user_sgpr_queue_ptr 0
		.amdhsa_user_sgpr_kernarg_segment_ptr 1
		.amdhsa_user_sgpr_dispatch_id 0
		.amdhsa_user_sgpr_private_segment_size 0
		.amdhsa_wavefront_size32 1
		.amdhsa_uses_dynamic_stack 0
		.amdhsa_enable_private_segment 0
		.amdhsa_system_sgpr_workgroup_id_x 1
		.amdhsa_system_sgpr_workgroup_id_y 0
		.amdhsa_system_sgpr_workgroup_id_z 0
		.amdhsa_system_sgpr_workgroup_info 0
		.amdhsa_system_vgpr_workitem_id 0
		.amdhsa_next_free_vgpr 6
		.amdhsa_next_free_sgpr 16
		.amdhsa_reserve_vcc 1
		.amdhsa_float_round_mode_32 0
		.amdhsa_float_round_mode_16_64 0
		.amdhsa_float_denorm_mode_32 3
		.amdhsa_float_denorm_mode_16_64 3
		.amdhsa_dx10_clamp 1
		.amdhsa_ieee_mode 1
		.amdhsa_fp16_overflow 0
		.amdhsa_workgroup_processor_mode 1
		.amdhsa_memory_ordered 1
		.amdhsa_forward_progress 0
		.amdhsa_shared_vgpr_count 0
		.amdhsa_exception_fp_ieee_invalid_op 0
		.amdhsa_exception_fp_denorm_src 0
		.amdhsa_exception_fp_ieee_div_zero 0
		.amdhsa_exception_fp_ieee_overflow 0
		.amdhsa_exception_fp_ieee_underflow 0
		.amdhsa_exception_fp_ieee_inexact 0
		.amdhsa_exception_int_div_zero 0
	.end_amdhsa_kernel
	.section	.text._Z24warp_reduce_valid_kernelI6__halfLj64ELj2EENSt9enable_ifIXsr10test_utilsE35device_test_enabled_for_warp_size_vIXT1_EEEvE4typeEPT_S5_i,"axG",@progbits,_Z24warp_reduce_valid_kernelI6__halfLj64ELj2EENSt9enable_ifIXsr10test_utilsE35device_test_enabled_for_warp_size_vIXT1_EEEvE4typeEPT_S5_i,comdat
.Lfunc_end103:
	.size	_Z24warp_reduce_valid_kernelI6__halfLj64ELj2EENSt9enable_ifIXsr10test_utilsE35device_test_enabled_for_warp_size_vIXT1_EEEvE4typeEPT_S5_i, .Lfunc_end103-_Z24warp_reduce_valid_kernelI6__halfLj64ELj2EENSt9enable_ifIXsr10test_utilsE35device_test_enabled_for_warp_size_vIXT1_EEEvE4typeEPT_S5_i
                                        ; -- End function
	.section	.AMDGPU.csdata,"",@progbits
; Kernel info:
; codeLenInByte = 200
; NumSgprs: 18
; NumVgprs: 6
; ScratchSize: 0
; MemoryBound: 0
; FloatMode: 240
; IeeeMode: 1
; LDSByteSize: 0 bytes/workgroup (compile time only)
; SGPRBlocks: 2
; VGPRBlocks: 0
; NumSGPRsForWavesPerEU: 18
; NumVGPRsForWavesPerEU: 6
; Occupancy: 16
; WaveLimiterHint : 0
; COMPUTE_PGM_RSRC2:SCRATCH_EN: 0
; COMPUTE_PGM_RSRC2:USER_SGPR: 15
; COMPUTE_PGM_RSRC2:TRAP_HANDLER: 0
; COMPUTE_PGM_RSRC2:TGID_X_EN: 1
; COMPUTE_PGM_RSRC2:TGID_Y_EN: 0
; COMPUTE_PGM_RSRC2:TGID_Z_EN: 0
; COMPUTE_PGM_RSRC2:TIDIG_COMP_CNT: 0
	.section	.text._Z24warp_reduce_valid_kernelI6__halfLj32ELj1EENSt9enable_ifIXsr10test_utilsE35device_test_enabled_for_warp_size_vIXT1_EEEvE4typeEPT_S5_i,"axG",@progbits,_Z24warp_reduce_valid_kernelI6__halfLj32ELj1EENSt9enable_ifIXsr10test_utilsE35device_test_enabled_for_warp_size_vIXT1_EEEvE4typeEPT_S5_i,comdat
	.protected	_Z24warp_reduce_valid_kernelI6__halfLj32ELj1EENSt9enable_ifIXsr10test_utilsE35device_test_enabled_for_warp_size_vIXT1_EEEvE4typeEPT_S5_i ; -- Begin function _Z24warp_reduce_valid_kernelI6__halfLj32ELj1EENSt9enable_ifIXsr10test_utilsE35device_test_enabled_for_warp_size_vIXT1_EEEvE4typeEPT_S5_i
	.globl	_Z24warp_reduce_valid_kernelI6__halfLj32ELj1EENSt9enable_ifIXsr10test_utilsE35device_test_enabled_for_warp_size_vIXT1_EEEvE4typeEPT_S5_i
	.p2align	8
	.type	_Z24warp_reduce_valid_kernelI6__halfLj32ELj1EENSt9enable_ifIXsr10test_utilsE35device_test_enabled_for_warp_size_vIXT1_EEEvE4typeEPT_S5_i,@function
_Z24warp_reduce_valid_kernelI6__halfLj32ELj1EENSt9enable_ifIXsr10test_utilsE35device_test_enabled_for_warp_size_vIXT1_EEEvE4typeEPT_S5_i: ; @_Z24warp_reduce_valid_kernelI6__halfLj32ELj1EENSt9enable_ifIXsr10test_utilsE35device_test_enabled_for_warp_size_vIXT1_EEEvE4typeEPT_S5_i
; %bb.0:
	s_clause 0x1
	s_load_b32 s4, s[0:1], 0x24
	s_load_b128 s[0:3], s[0:1], 0x0
	s_waitcnt lgkmcnt(0)
	s_and_b32 s4, s4, 0xffff
	s_delay_alu instid0(SALU_CYCLE_1) | instskip(SKIP_1) | instid1(VALU_DEP_1)
	v_mad_u64_u32 v[1:2], null, s15, s4, v[0:1]
	v_mov_b32_e32 v2, 0
	v_lshlrev_b64 v[0:1], 1, v[1:2]
	s_delay_alu instid0(VALU_DEP_1) | instskip(NEXT) | instid1(VALU_DEP_2)
	v_add_co_u32 v2, vcc_lo, s0, v0
	v_add_co_ci_u32_e32 v3, vcc_lo, s1, v1, vcc_lo
	v_add_co_u32 v0, vcc_lo, s2, v0
	v_add_co_ci_u32_e32 v1, vcc_lo, s3, v1, vcc_lo
	global_load_u16 v2, v[2:3], off
	s_waitcnt vmcnt(0)
	global_store_b16 v[0:1], v2, off
	s_nop 0
	s_sendmsg sendmsg(MSG_DEALLOC_VGPRS)
	s_endpgm
	.section	.rodata,"a",@progbits
	.p2align	6, 0x0
	.amdhsa_kernel _Z24warp_reduce_valid_kernelI6__halfLj32ELj1EENSt9enable_ifIXsr10test_utilsE35device_test_enabled_for_warp_size_vIXT1_EEEvE4typeEPT_S5_i
		.amdhsa_group_segment_fixed_size 0
		.amdhsa_private_segment_fixed_size 0
		.amdhsa_kernarg_size 280
		.amdhsa_user_sgpr_count 15
		.amdhsa_user_sgpr_dispatch_ptr 0
		.amdhsa_user_sgpr_queue_ptr 0
		.amdhsa_user_sgpr_kernarg_segment_ptr 1
		.amdhsa_user_sgpr_dispatch_id 0
		.amdhsa_user_sgpr_private_segment_size 0
		.amdhsa_wavefront_size32 1
		.amdhsa_uses_dynamic_stack 0
		.amdhsa_enable_private_segment 0
		.amdhsa_system_sgpr_workgroup_id_x 1
		.amdhsa_system_sgpr_workgroup_id_y 0
		.amdhsa_system_sgpr_workgroup_id_z 0
		.amdhsa_system_sgpr_workgroup_info 0
		.amdhsa_system_vgpr_workitem_id 0
		.amdhsa_next_free_vgpr 4
		.amdhsa_next_free_sgpr 16
		.amdhsa_reserve_vcc 1
		.amdhsa_float_round_mode_32 0
		.amdhsa_float_round_mode_16_64 0
		.amdhsa_float_denorm_mode_32 3
		.amdhsa_float_denorm_mode_16_64 3
		.amdhsa_dx10_clamp 1
		.amdhsa_ieee_mode 1
		.amdhsa_fp16_overflow 0
		.amdhsa_workgroup_processor_mode 1
		.amdhsa_memory_ordered 1
		.amdhsa_forward_progress 0
		.amdhsa_shared_vgpr_count 0
		.amdhsa_exception_fp_ieee_invalid_op 0
		.amdhsa_exception_fp_denorm_src 0
		.amdhsa_exception_fp_ieee_div_zero 0
		.amdhsa_exception_fp_ieee_overflow 0
		.amdhsa_exception_fp_ieee_underflow 0
		.amdhsa_exception_fp_ieee_inexact 0
		.amdhsa_exception_int_div_zero 0
	.end_amdhsa_kernel
	.section	.text._Z24warp_reduce_valid_kernelI6__halfLj32ELj1EENSt9enable_ifIXsr10test_utilsE35device_test_enabled_for_warp_size_vIXT1_EEEvE4typeEPT_S5_i,"axG",@progbits,_Z24warp_reduce_valid_kernelI6__halfLj32ELj1EENSt9enable_ifIXsr10test_utilsE35device_test_enabled_for_warp_size_vIXT1_EEEvE4typeEPT_S5_i,comdat
.Lfunc_end104:
	.size	_Z24warp_reduce_valid_kernelI6__halfLj32ELj1EENSt9enable_ifIXsr10test_utilsE35device_test_enabled_for_warp_size_vIXT1_EEEvE4typeEPT_S5_i, .Lfunc_end104-_Z24warp_reduce_valid_kernelI6__halfLj32ELj1EENSt9enable_ifIXsr10test_utilsE35device_test_enabled_for_warp_size_vIXT1_EEEvE4typeEPT_S5_i
                                        ; -- End function
	.section	.AMDGPU.csdata,"",@progbits
; Kernel info:
; codeLenInByte = 116
; NumSgprs: 18
; NumVgprs: 4
; ScratchSize: 0
; MemoryBound: 0
; FloatMode: 240
; IeeeMode: 1
; LDSByteSize: 0 bytes/workgroup (compile time only)
; SGPRBlocks: 2
; VGPRBlocks: 0
; NumSGPRsForWavesPerEU: 18
; NumVGPRsForWavesPerEU: 4
; Occupancy: 16
; WaveLimiterHint : 0
; COMPUTE_PGM_RSRC2:SCRATCH_EN: 0
; COMPUTE_PGM_RSRC2:USER_SGPR: 15
; COMPUTE_PGM_RSRC2:TRAP_HANDLER: 0
; COMPUTE_PGM_RSRC2:TGID_X_EN: 1
; COMPUTE_PGM_RSRC2:TGID_Y_EN: 0
; COMPUTE_PGM_RSRC2:TGID_Z_EN: 0
; COMPUTE_PGM_RSRC2:TIDIG_COMP_CNT: 0
	.section	.text._Z24warp_reduce_valid_kernelI6__halfLj64ELj1EENSt9enable_ifIXsr10test_utilsE35device_test_enabled_for_warp_size_vIXT1_EEEvE4typeEPT_S5_i,"axG",@progbits,_Z24warp_reduce_valid_kernelI6__halfLj64ELj1EENSt9enable_ifIXsr10test_utilsE35device_test_enabled_for_warp_size_vIXT1_EEEvE4typeEPT_S5_i,comdat
	.protected	_Z24warp_reduce_valid_kernelI6__halfLj64ELj1EENSt9enable_ifIXsr10test_utilsE35device_test_enabled_for_warp_size_vIXT1_EEEvE4typeEPT_S5_i ; -- Begin function _Z24warp_reduce_valid_kernelI6__halfLj64ELj1EENSt9enable_ifIXsr10test_utilsE35device_test_enabled_for_warp_size_vIXT1_EEEvE4typeEPT_S5_i
	.globl	_Z24warp_reduce_valid_kernelI6__halfLj64ELj1EENSt9enable_ifIXsr10test_utilsE35device_test_enabled_for_warp_size_vIXT1_EEEvE4typeEPT_S5_i
	.p2align	8
	.type	_Z24warp_reduce_valid_kernelI6__halfLj64ELj1EENSt9enable_ifIXsr10test_utilsE35device_test_enabled_for_warp_size_vIXT1_EEEvE4typeEPT_S5_i,@function
_Z24warp_reduce_valid_kernelI6__halfLj64ELj1EENSt9enable_ifIXsr10test_utilsE35device_test_enabled_for_warp_size_vIXT1_EEEvE4typeEPT_S5_i: ; @_Z24warp_reduce_valid_kernelI6__halfLj64ELj1EENSt9enable_ifIXsr10test_utilsE35device_test_enabled_for_warp_size_vIXT1_EEEvE4typeEPT_S5_i
; %bb.0:
	s_clause 0x1
	s_load_b32 s4, s[0:1], 0x24
	s_load_b128 s[0:3], s[0:1], 0x0
	s_waitcnt lgkmcnt(0)
	s_and_b32 s4, s4, 0xffff
	s_delay_alu instid0(SALU_CYCLE_1) | instskip(SKIP_1) | instid1(VALU_DEP_1)
	v_mad_u64_u32 v[1:2], null, s15, s4, v[0:1]
	v_mov_b32_e32 v2, 0
	v_lshlrev_b64 v[0:1], 1, v[1:2]
	s_delay_alu instid0(VALU_DEP_1) | instskip(NEXT) | instid1(VALU_DEP_2)
	v_add_co_u32 v2, vcc_lo, s0, v0
	v_add_co_ci_u32_e32 v3, vcc_lo, s1, v1, vcc_lo
	v_add_co_u32 v0, vcc_lo, s2, v0
	v_add_co_ci_u32_e32 v1, vcc_lo, s3, v1, vcc_lo
	global_load_u16 v2, v[2:3], off
	s_waitcnt vmcnt(0)
	global_store_b16 v[0:1], v2, off
	s_nop 0
	s_sendmsg sendmsg(MSG_DEALLOC_VGPRS)
	s_endpgm
	.section	.rodata,"a",@progbits
	.p2align	6, 0x0
	.amdhsa_kernel _Z24warp_reduce_valid_kernelI6__halfLj64ELj1EENSt9enable_ifIXsr10test_utilsE35device_test_enabled_for_warp_size_vIXT1_EEEvE4typeEPT_S5_i
		.amdhsa_group_segment_fixed_size 0
		.amdhsa_private_segment_fixed_size 0
		.amdhsa_kernarg_size 280
		.amdhsa_user_sgpr_count 15
		.amdhsa_user_sgpr_dispatch_ptr 0
		.amdhsa_user_sgpr_queue_ptr 0
		.amdhsa_user_sgpr_kernarg_segment_ptr 1
		.amdhsa_user_sgpr_dispatch_id 0
		.amdhsa_user_sgpr_private_segment_size 0
		.amdhsa_wavefront_size32 1
		.amdhsa_uses_dynamic_stack 0
		.amdhsa_enable_private_segment 0
		.amdhsa_system_sgpr_workgroup_id_x 1
		.amdhsa_system_sgpr_workgroup_id_y 0
		.amdhsa_system_sgpr_workgroup_id_z 0
		.amdhsa_system_sgpr_workgroup_info 0
		.amdhsa_system_vgpr_workitem_id 0
		.amdhsa_next_free_vgpr 4
		.amdhsa_next_free_sgpr 16
		.amdhsa_reserve_vcc 1
		.amdhsa_float_round_mode_32 0
		.amdhsa_float_round_mode_16_64 0
		.amdhsa_float_denorm_mode_32 3
		.amdhsa_float_denorm_mode_16_64 3
		.amdhsa_dx10_clamp 1
		.amdhsa_ieee_mode 1
		.amdhsa_fp16_overflow 0
		.amdhsa_workgroup_processor_mode 1
		.amdhsa_memory_ordered 1
		.amdhsa_forward_progress 0
		.amdhsa_shared_vgpr_count 0
		.amdhsa_exception_fp_ieee_invalid_op 0
		.amdhsa_exception_fp_denorm_src 0
		.amdhsa_exception_fp_ieee_div_zero 0
		.amdhsa_exception_fp_ieee_overflow 0
		.amdhsa_exception_fp_ieee_underflow 0
		.amdhsa_exception_fp_ieee_inexact 0
		.amdhsa_exception_int_div_zero 0
	.end_amdhsa_kernel
	.section	.text._Z24warp_reduce_valid_kernelI6__halfLj64ELj1EENSt9enable_ifIXsr10test_utilsE35device_test_enabled_for_warp_size_vIXT1_EEEvE4typeEPT_S5_i,"axG",@progbits,_Z24warp_reduce_valid_kernelI6__halfLj64ELj1EENSt9enable_ifIXsr10test_utilsE35device_test_enabled_for_warp_size_vIXT1_EEEvE4typeEPT_S5_i,comdat
.Lfunc_end105:
	.size	_Z24warp_reduce_valid_kernelI6__halfLj64ELj1EENSt9enable_ifIXsr10test_utilsE35device_test_enabled_for_warp_size_vIXT1_EEEvE4typeEPT_S5_i, .Lfunc_end105-_Z24warp_reduce_valid_kernelI6__halfLj64ELj1EENSt9enable_ifIXsr10test_utilsE35device_test_enabled_for_warp_size_vIXT1_EEEvE4typeEPT_S5_i
                                        ; -- End function
	.section	.AMDGPU.csdata,"",@progbits
; Kernel info:
; codeLenInByte = 116
; NumSgprs: 18
; NumVgprs: 4
; ScratchSize: 0
; MemoryBound: 0
; FloatMode: 240
; IeeeMode: 1
; LDSByteSize: 0 bytes/workgroup (compile time only)
; SGPRBlocks: 2
; VGPRBlocks: 0
; NumSGPRsForWavesPerEU: 18
; NumVGPRsForWavesPerEU: 4
; Occupancy: 16
; WaveLimiterHint : 0
; COMPUTE_PGM_RSRC2:SCRATCH_EN: 0
; COMPUTE_PGM_RSRC2:USER_SGPR: 15
; COMPUTE_PGM_RSRC2:TRAP_HANDLER: 0
; COMPUTE_PGM_RSRC2:TGID_X_EN: 1
; COMPUTE_PGM_RSRC2:TGID_Y_EN: 0
; COMPUTE_PGM_RSRC2:TGID_Z_EN: 0
; COMPUTE_PGM_RSRC2:TIDIG_COMP_CNT: 0
	.section	.text._Z24warp_reduce_valid_kernelIfLj256ELj64EENSt9enable_ifIXntsr10test_utilsE35device_test_enabled_for_warp_size_vIXT1_EEEvE4typeEPT_S4_i,"axG",@progbits,_Z24warp_reduce_valid_kernelIfLj256ELj64EENSt9enable_ifIXntsr10test_utilsE35device_test_enabled_for_warp_size_vIXT1_EEEvE4typeEPT_S4_i,comdat
	.protected	_Z24warp_reduce_valid_kernelIfLj256ELj64EENSt9enable_ifIXntsr10test_utilsE35device_test_enabled_for_warp_size_vIXT1_EEEvE4typeEPT_S4_i ; -- Begin function _Z24warp_reduce_valid_kernelIfLj256ELj64EENSt9enable_ifIXntsr10test_utilsE35device_test_enabled_for_warp_size_vIXT1_EEEvE4typeEPT_S4_i
	.globl	_Z24warp_reduce_valid_kernelIfLj256ELj64EENSt9enable_ifIXntsr10test_utilsE35device_test_enabled_for_warp_size_vIXT1_EEEvE4typeEPT_S4_i
	.p2align	8
	.type	_Z24warp_reduce_valid_kernelIfLj256ELj64EENSt9enable_ifIXntsr10test_utilsE35device_test_enabled_for_warp_size_vIXT1_EEEvE4typeEPT_S4_i,@function
_Z24warp_reduce_valid_kernelIfLj256ELj64EENSt9enable_ifIXntsr10test_utilsE35device_test_enabled_for_warp_size_vIXT1_EEEvE4typeEPT_S4_i: ; @_Z24warp_reduce_valid_kernelIfLj256ELj64EENSt9enable_ifIXntsr10test_utilsE35device_test_enabled_for_warp_size_vIXT1_EEEvE4typeEPT_S4_i
; %bb.0:
	s_endpgm
	.section	.rodata,"a",@progbits
	.p2align	6, 0x0
	.amdhsa_kernel _Z24warp_reduce_valid_kernelIfLj256ELj64EENSt9enable_ifIXntsr10test_utilsE35device_test_enabled_for_warp_size_vIXT1_EEEvE4typeEPT_S4_i
		.amdhsa_group_segment_fixed_size 0
		.amdhsa_private_segment_fixed_size 0
		.amdhsa_kernarg_size 20
		.amdhsa_user_sgpr_count 15
		.amdhsa_user_sgpr_dispatch_ptr 0
		.amdhsa_user_sgpr_queue_ptr 0
		.amdhsa_user_sgpr_kernarg_segment_ptr 1
		.amdhsa_user_sgpr_dispatch_id 0
		.amdhsa_user_sgpr_private_segment_size 0
		.amdhsa_wavefront_size32 1
		.amdhsa_uses_dynamic_stack 0
		.amdhsa_enable_private_segment 0
		.amdhsa_system_sgpr_workgroup_id_x 1
		.amdhsa_system_sgpr_workgroup_id_y 0
		.amdhsa_system_sgpr_workgroup_id_z 0
		.amdhsa_system_sgpr_workgroup_info 0
		.amdhsa_system_vgpr_workitem_id 0
		.amdhsa_next_free_vgpr 1
		.amdhsa_next_free_sgpr 1
		.amdhsa_reserve_vcc 0
		.amdhsa_float_round_mode_32 0
		.amdhsa_float_round_mode_16_64 0
		.amdhsa_float_denorm_mode_32 3
		.amdhsa_float_denorm_mode_16_64 3
		.amdhsa_dx10_clamp 1
		.amdhsa_ieee_mode 1
		.amdhsa_fp16_overflow 0
		.amdhsa_workgroup_processor_mode 1
		.amdhsa_memory_ordered 1
		.amdhsa_forward_progress 0
		.amdhsa_shared_vgpr_count 0
		.amdhsa_exception_fp_ieee_invalid_op 0
		.amdhsa_exception_fp_denorm_src 0
		.amdhsa_exception_fp_ieee_div_zero 0
		.amdhsa_exception_fp_ieee_overflow 0
		.amdhsa_exception_fp_ieee_underflow 0
		.amdhsa_exception_fp_ieee_inexact 0
		.amdhsa_exception_int_div_zero 0
	.end_amdhsa_kernel
	.section	.text._Z24warp_reduce_valid_kernelIfLj256ELj64EENSt9enable_ifIXntsr10test_utilsE35device_test_enabled_for_warp_size_vIXT1_EEEvE4typeEPT_S4_i,"axG",@progbits,_Z24warp_reduce_valid_kernelIfLj256ELj64EENSt9enable_ifIXntsr10test_utilsE35device_test_enabled_for_warp_size_vIXT1_EEEvE4typeEPT_S4_i,comdat
.Lfunc_end106:
	.size	_Z24warp_reduce_valid_kernelIfLj256ELj64EENSt9enable_ifIXntsr10test_utilsE35device_test_enabled_for_warp_size_vIXT1_EEEvE4typeEPT_S4_i, .Lfunc_end106-_Z24warp_reduce_valid_kernelIfLj256ELj64EENSt9enable_ifIXntsr10test_utilsE35device_test_enabled_for_warp_size_vIXT1_EEEvE4typeEPT_S4_i
                                        ; -- End function
	.section	.AMDGPU.csdata,"",@progbits
; Kernel info:
; codeLenInByte = 4
; NumSgprs: 0
; NumVgprs: 0
; ScratchSize: 0
; MemoryBound: 0
; FloatMode: 240
; IeeeMode: 1
; LDSByteSize: 0 bytes/workgroup (compile time only)
; SGPRBlocks: 0
; VGPRBlocks: 0
; NumSGPRsForWavesPerEU: 1
; NumVGPRsForWavesPerEU: 1
; Occupancy: 16
; WaveLimiterHint : 0
; COMPUTE_PGM_RSRC2:SCRATCH_EN: 0
; COMPUTE_PGM_RSRC2:USER_SGPR: 15
; COMPUTE_PGM_RSRC2:TRAP_HANDLER: 0
; COMPUTE_PGM_RSRC2:TGID_X_EN: 1
; COMPUTE_PGM_RSRC2:TGID_Y_EN: 0
; COMPUTE_PGM_RSRC2:TGID_Z_EN: 0
; COMPUTE_PGM_RSRC2:TIDIG_COMP_CNT: 0
	.section	.text._Z24warp_reduce_valid_kernelIfLj128ELj32EENSt9enable_ifIXsr10test_utilsE35device_test_enabled_for_warp_size_vIXT1_EEEvE4typeEPT_S4_i,"axG",@progbits,_Z24warp_reduce_valid_kernelIfLj128ELj32EENSt9enable_ifIXsr10test_utilsE35device_test_enabled_for_warp_size_vIXT1_EEEvE4typeEPT_S4_i,comdat
	.protected	_Z24warp_reduce_valid_kernelIfLj128ELj32EENSt9enable_ifIXsr10test_utilsE35device_test_enabled_for_warp_size_vIXT1_EEEvE4typeEPT_S4_i ; -- Begin function _Z24warp_reduce_valid_kernelIfLj128ELj32EENSt9enable_ifIXsr10test_utilsE35device_test_enabled_for_warp_size_vIXT1_EEEvE4typeEPT_S4_i
	.globl	_Z24warp_reduce_valid_kernelIfLj128ELj32EENSt9enable_ifIXsr10test_utilsE35device_test_enabled_for_warp_size_vIXT1_EEEvE4typeEPT_S4_i
	.p2align	8
	.type	_Z24warp_reduce_valid_kernelIfLj128ELj32EENSt9enable_ifIXsr10test_utilsE35device_test_enabled_for_warp_size_vIXT1_EEEvE4typeEPT_S4_i,@function
_Z24warp_reduce_valid_kernelIfLj128ELj32EENSt9enable_ifIXsr10test_utilsE35device_test_enabled_for_warp_size_vIXT1_EEEvE4typeEPT_S4_i: ; @_Z24warp_reduce_valid_kernelIfLj128ELj32EENSt9enable_ifIXsr10test_utilsE35device_test_enabled_for_warp_size_vIXT1_EEEvE4typeEPT_S4_i
; %bb.0:
	s_clause 0x2
	s_load_b32 s2, s[0:1], 0x24
	s_load_b128 s[4:7], s[0:1], 0x0
	s_load_b32 s0, s[0:1], 0x10
	s_mov_b32 s1, exec_lo
	s_waitcnt lgkmcnt(0)
	s_and_b32 s2, s2, 0xffff
	s_delay_alu instid0(SALU_CYCLE_1) | instskip(SKIP_2) | instid1(VALU_DEP_2)
	v_mad_u64_u32 v[1:2], null, s15, s2, v[0:1]
	v_mov_b32_e32 v2, 0
	v_and_b32_e32 v0, 31, v0
	v_lshlrev_b64 v[2:3], 2, v[1:2]
	s_delay_alu instid0(VALU_DEP_1) | instskip(NEXT) | instid1(VALU_DEP_2)
	v_add_co_u32 v2, vcc_lo, s4, v2
	v_add_co_ci_u32_e32 v3, vcc_lo, s5, v3, vcc_lo
	global_load_b32 v3, v[2:3], off
	v_mbcnt_lo_u32_b32 v2, -1, 0
	s_delay_alu instid0(VALU_DEP_1) | instskip(SKIP_2) | instid1(VALU_DEP_2)
	v_cmp_ne_u32_e32 vcc_lo, 31, v2
	v_add_co_ci_u32_e32 v4, vcc_lo, 0, v2, vcc_lo
	v_cmp_gt_u32_e32 vcc_lo, 30, v2
	v_lshlrev_b32_e32 v4, 2, v4
	v_cndmask_b32_e64 v5, 0, 1, vcc_lo
	s_delay_alu instid0(VALU_DEP_1) | instskip(NEXT) | instid1(VALU_DEP_1)
	v_lshlrev_b32_e32 v5, 1, v5
	v_add_lshl_u32 v5, v5, v2, 2
	s_waitcnt vmcnt(0)
	ds_bpermute_b32 v4, v4, v3
	s_waitcnt lgkmcnt(0)
	v_add_f32_e32 v4, v3, v4
	v_add_nc_u32_e32 v6, 1, v2
	s_delay_alu instid0(VALU_DEP_1) | instskip(NEXT) | instid1(VALU_DEP_3)
	v_cmp_gt_u32_e32 vcc_lo, s0, v6
	v_cndmask_b32_e32 v3, v3, v4, vcc_lo
	v_cmp_gt_u32_e32 vcc_lo, 28, v2
	ds_bpermute_b32 v4, v5, v3
	v_cndmask_b32_e64 v5, 0, 1, vcc_lo
	s_delay_alu instid0(VALU_DEP_1) | instskip(NEXT) | instid1(VALU_DEP_1)
	v_lshlrev_b32_e32 v5, 2, v5
	v_add_lshl_u32 v5, v5, v2, 2
	s_waitcnt lgkmcnt(0)
	v_add_f32_e32 v4, v3, v4
	v_add_nc_u32_e32 v6, 2, v2
	s_delay_alu instid0(VALU_DEP_1) | instskip(NEXT) | instid1(VALU_DEP_3)
	v_cmp_gt_u32_e32 vcc_lo, s0, v6
	v_cndmask_b32_e32 v3, v3, v4, vcc_lo
	v_cmp_gt_u32_e32 vcc_lo, 24, v2
	ds_bpermute_b32 v4, v5, v3
	v_cndmask_b32_e64 v5, 0, 1, vcc_lo
	s_delay_alu instid0(VALU_DEP_1) | instskip(NEXT) | instid1(VALU_DEP_1)
	v_lshlrev_b32_e32 v5, 3, v5
	v_add_lshl_u32 v5, v5, v2, 2
	s_waitcnt lgkmcnt(0)
	v_add_f32_e32 v4, v3, v4
	v_add_nc_u32_e32 v6, 4, v2
	s_delay_alu instid0(VALU_DEP_1) | instskip(NEXT) | instid1(VALU_DEP_3)
	v_cmp_gt_u32_e32 vcc_lo, s0, v6
	v_cndmask_b32_e32 v3, v3, v4, vcc_lo
	v_cmp_gt_u32_e32 vcc_lo, 16, v2
	ds_bpermute_b32 v4, v5, v3
	v_cndmask_b32_e64 v5, 0, 1, vcc_lo
	s_waitcnt lgkmcnt(0)
	s_delay_alu instid0(VALU_DEP_1) | instskip(SKIP_1) | instid1(VALU_DEP_1)
	v_dual_add_f32 v4, v3, v4 :: v_dual_lshlrev_b32 v5, 4, v5
	v_add_nc_u32_e32 v6, 8, v2
	v_cmp_gt_u32_e32 vcc_lo, s0, v6
	s_delay_alu instid0(VALU_DEP_3) | instskip(NEXT) | instid1(VALU_DEP_4)
	v_cndmask_b32_e32 v3, v3, v4, vcc_lo
	v_add_lshl_u32 v4, v5, v2, 2
	ds_bpermute_b32 v4, v4, v3
	v_cmpx_eq_u32_e32 0, v0
	s_cbranch_execz .LBB107_2
; %bb.1:
	v_lshrrev_b32_e32 v0, 3, v1
	s_waitcnt lgkmcnt(0)
	v_dual_add_f32 v2, v3, v4 :: v_dual_add_nc_u32 v1, 16, v2
	s_delay_alu instid0(VALU_DEP_1) | instskip(NEXT) | instid1(VALU_DEP_2)
	v_cmp_gt_u32_e32 vcc_lo, s0, v1
	v_dual_cndmask_b32 v1, v3, v2 :: v_dual_and_b32 v0, 0x1ffffffc, v0
	global_store_b32 v0, v1, s[6:7]
.LBB107_2:
	s_nop 0
	s_sendmsg sendmsg(MSG_DEALLOC_VGPRS)
	s_endpgm
	.section	.rodata,"a",@progbits
	.p2align	6, 0x0
	.amdhsa_kernel _Z24warp_reduce_valid_kernelIfLj128ELj32EENSt9enable_ifIXsr10test_utilsE35device_test_enabled_for_warp_size_vIXT1_EEEvE4typeEPT_S4_i
		.amdhsa_group_segment_fixed_size 0
		.amdhsa_private_segment_fixed_size 0
		.amdhsa_kernarg_size 280
		.amdhsa_user_sgpr_count 15
		.amdhsa_user_sgpr_dispatch_ptr 0
		.amdhsa_user_sgpr_queue_ptr 0
		.amdhsa_user_sgpr_kernarg_segment_ptr 1
		.amdhsa_user_sgpr_dispatch_id 0
		.amdhsa_user_sgpr_private_segment_size 0
		.amdhsa_wavefront_size32 1
		.amdhsa_uses_dynamic_stack 0
		.amdhsa_enable_private_segment 0
		.amdhsa_system_sgpr_workgroup_id_x 1
		.amdhsa_system_sgpr_workgroup_id_y 0
		.amdhsa_system_sgpr_workgroup_id_z 0
		.amdhsa_system_sgpr_workgroup_info 0
		.amdhsa_system_vgpr_workitem_id 0
		.amdhsa_next_free_vgpr 7
		.amdhsa_next_free_sgpr 16
		.amdhsa_reserve_vcc 1
		.amdhsa_float_round_mode_32 0
		.amdhsa_float_round_mode_16_64 0
		.amdhsa_float_denorm_mode_32 3
		.amdhsa_float_denorm_mode_16_64 3
		.amdhsa_dx10_clamp 1
		.amdhsa_ieee_mode 1
		.amdhsa_fp16_overflow 0
		.amdhsa_workgroup_processor_mode 1
		.amdhsa_memory_ordered 1
		.amdhsa_forward_progress 0
		.amdhsa_shared_vgpr_count 0
		.amdhsa_exception_fp_ieee_invalid_op 0
		.amdhsa_exception_fp_denorm_src 0
		.amdhsa_exception_fp_ieee_div_zero 0
		.amdhsa_exception_fp_ieee_overflow 0
		.amdhsa_exception_fp_ieee_underflow 0
		.amdhsa_exception_fp_ieee_inexact 0
		.amdhsa_exception_int_div_zero 0
	.end_amdhsa_kernel
	.section	.text._Z24warp_reduce_valid_kernelIfLj128ELj32EENSt9enable_ifIXsr10test_utilsE35device_test_enabled_for_warp_size_vIXT1_EEEvE4typeEPT_S4_i,"axG",@progbits,_Z24warp_reduce_valid_kernelIfLj128ELj32EENSt9enable_ifIXsr10test_utilsE35device_test_enabled_for_warp_size_vIXT1_EEEvE4typeEPT_S4_i,comdat
.Lfunc_end107:
	.size	_Z24warp_reduce_valid_kernelIfLj128ELj32EENSt9enable_ifIXsr10test_utilsE35device_test_enabled_for_warp_size_vIXT1_EEEvE4typeEPT_S4_i, .Lfunc_end107-_Z24warp_reduce_valid_kernelIfLj128ELj32EENSt9enable_ifIXsr10test_utilsE35device_test_enabled_for_warp_size_vIXT1_EEEvE4typeEPT_S4_i
                                        ; -- End function
	.section	.AMDGPU.csdata,"",@progbits
; Kernel info:
; codeLenInByte = 436
; NumSgprs: 18
; NumVgprs: 7
; ScratchSize: 0
; MemoryBound: 0
; FloatMode: 240
; IeeeMode: 1
; LDSByteSize: 0 bytes/workgroup (compile time only)
; SGPRBlocks: 2
; VGPRBlocks: 0
; NumSGPRsForWavesPerEU: 18
; NumVGPRsForWavesPerEU: 7
; Occupancy: 16
; WaveLimiterHint : 0
; COMPUTE_PGM_RSRC2:SCRATCH_EN: 0
; COMPUTE_PGM_RSRC2:USER_SGPR: 15
; COMPUTE_PGM_RSRC2:TRAP_HANDLER: 0
; COMPUTE_PGM_RSRC2:TGID_X_EN: 1
; COMPUTE_PGM_RSRC2:TGID_Y_EN: 0
; COMPUTE_PGM_RSRC2:TGID_Z_EN: 0
; COMPUTE_PGM_RSRC2:TIDIG_COMP_CNT: 0
	.section	.text._Z24warp_reduce_valid_kernelIfLj64ELj16EENSt9enable_ifIXsr10test_utilsE35device_test_enabled_for_warp_size_vIXT1_EEEvE4typeEPT_S4_i,"axG",@progbits,_Z24warp_reduce_valid_kernelIfLj64ELj16EENSt9enable_ifIXsr10test_utilsE35device_test_enabled_for_warp_size_vIXT1_EEEvE4typeEPT_S4_i,comdat
	.protected	_Z24warp_reduce_valid_kernelIfLj64ELj16EENSt9enable_ifIXsr10test_utilsE35device_test_enabled_for_warp_size_vIXT1_EEEvE4typeEPT_S4_i ; -- Begin function _Z24warp_reduce_valid_kernelIfLj64ELj16EENSt9enable_ifIXsr10test_utilsE35device_test_enabled_for_warp_size_vIXT1_EEEvE4typeEPT_S4_i
	.globl	_Z24warp_reduce_valid_kernelIfLj64ELj16EENSt9enable_ifIXsr10test_utilsE35device_test_enabled_for_warp_size_vIXT1_EEEvE4typeEPT_S4_i
	.p2align	8
	.type	_Z24warp_reduce_valid_kernelIfLj64ELj16EENSt9enable_ifIXsr10test_utilsE35device_test_enabled_for_warp_size_vIXT1_EEEvE4typeEPT_S4_i,@function
_Z24warp_reduce_valid_kernelIfLj64ELj16EENSt9enable_ifIXsr10test_utilsE35device_test_enabled_for_warp_size_vIXT1_EEEvE4typeEPT_S4_i: ; @_Z24warp_reduce_valid_kernelIfLj64ELj16EENSt9enable_ifIXsr10test_utilsE35device_test_enabled_for_warp_size_vIXT1_EEEvE4typeEPT_S4_i
; %bb.0:
	s_clause 0x1
	s_load_b32 s2, s[0:1], 0x24
	s_load_b128 s[4:7], s[0:1], 0x0
	v_mbcnt_lo_u32_b32 v5, -1, 0
	s_load_b32 s1, s[0:1], 0x10
	s_waitcnt lgkmcnt(0)
	s_and_b32 s2, s2, 0xffff
	s_delay_alu instid0(SALU_CYCLE_1) | instskip(SKIP_3) | instid1(VALU_DEP_2)
	v_mad_u64_u32 v[1:2], null, s15, s2, v[0:1]
	v_mov_b32_e32 v2, 0
	v_and_b32_e32 v0, 15, v0
	s_mov_b32 s2, exec_lo
	v_lshlrev_b64 v[2:3], 2, v[1:2]
	s_delay_alu instid0(VALU_DEP_1) | instskip(NEXT) | instid1(VALU_DEP_2)
	v_add_co_u32 v2, vcc_lo, s4, v2
	v_add_co_ci_u32_e32 v3, vcc_lo, s5, v3, vcc_lo
	global_load_b32 v2, v[2:3], off
	v_and_b32_e32 v3, 15, v5
	s_delay_alu instid0(VALU_DEP_1) | instskip(SKIP_4) | instid1(VALU_DEP_2)
	v_cmp_ne_u32_e32 vcc_lo, 15, v3
	v_cmp_gt_u32_e64 s0, 12, v3
	v_add_nc_u32_e32 v8, 2, v3
	v_add_co_ci_u32_e32 v4, vcc_lo, 0, v5, vcc_lo
	v_cmp_gt_u32_e32 vcc_lo, 14, v3
	v_lshlrev_b32_e32 v4, 2, v4
	v_cndmask_b32_e64 v6, 0, 1, vcc_lo
	s_delay_alu instid0(VALU_DEP_1) | instskip(NEXT) | instid1(VALU_DEP_1)
	v_lshlrev_b32_e32 v6, 1, v6
	v_add_lshl_u32 v6, v6, v5, 2
	s_waitcnt vmcnt(0)
	ds_bpermute_b32 v4, v4, v2
	s_waitcnt lgkmcnt(0)
	v_dual_add_f32 v4, v2, v4 :: v_dual_add_nc_u32 v7, 1, v3
	s_delay_alu instid0(VALU_DEP_1) | instskip(SKIP_3) | instid1(VALU_DEP_3)
	v_cmp_gt_u32_e32 vcc_lo, s1, v7
	v_cndmask_b32_e64 v7, 0, 1, s0
	v_cmp_gt_u32_e64 s0, s1, v8
	v_add_nc_u32_e32 v8, 4, v3
	v_dual_cndmask_b32 v4, v2, v4 :: v_dual_lshlrev_b32 v7, 2, v7
	ds_bpermute_b32 v6, v6, v4
	v_add_lshl_u32 v7, v7, v5, 2
	s_waitcnt lgkmcnt(0)
	v_add_f32_e32 v6, v4, v6
	s_delay_alu instid0(VALU_DEP_1) | instskip(SKIP_4) | instid1(VALU_DEP_2)
	v_cndmask_b32_e64 v4, v4, v6, s0
	v_cmp_gt_u32_e64 s0, 8, v3
	ds_bpermute_b32 v6, v7, v4
	v_cndmask_b32_e64 v7, 0, 1, s0
	v_cmp_gt_u32_e64 s0, s1, v8
	v_lshlrev_b32_e32 v7, 3, v7
	s_delay_alu instid0(VALU_DEP_1) | instskip(SKIP_2) | instid1(VALU_DEP_1)
	v_add_lshl_u32 v5, v7, v5, 2
	s_waitcnt lgkmcnt(0)
	v_add_f32_e32 v6, v4, v6
	v_cndmask_b32_e64 v4, v4, v6, s0
	ds_bpermute_b32 v5, v5, v4
	v_cmpx_eq_u32_e32 0, v0
	s_cbranch_execz .LBB108_2
; %bb.1:
	s_waitcnt lgkmcnt(0)
	v_dual_add_f32 v3, v4, v5 :: v_dual_add_nc_u32 v0, 8, v3
	v_lshrrev_b32_e32 v1, 2, v1
	s_delay_alu instid0(VALU_DEP_2) | instskip(NEXT) | instid1(VALU_DEP_1)
	v_cmp_gt_u32_e64 s0, s1, v0
	v_cndmask_b32_e64 v0, v4, v3, s0
	s_delay_alu instid0(VALU_DEP_1)
	v_dual_cndmask_b32 v0, v2, v0 :: v_dual_and_b32 v1, 0x3ffffffc, v1
	global_store_b32 v1, v0, s[6:7]
.LBB108_2:
	s_nop 0
	s_sendmsg sendmsg(MSG_DEALLOC_VGPRS)
	s_endpgm
	.section	.rodata,"a",@progbits
	.p2align	6, 0x0
	.amdhsa_kernel _Z24warp_reduce_valid_kernelIfLj64ELj16EENSt9enable_ifIXsr10test_utilsE35device_test_enabled_for_warp_size_vIXT1_EEEvE4typeEPT_S4_i
		.amdhsa_group_segment_fixed_size 0
		.amdhsa_private_segment_fixed_size 0
		.amdhsa_kernarg_size 280
		.amdhsa_user_sgpr_count 15
		.amdhsa_user_sgpr_dispatch_ptr 0
		.amdhsa_user_sgpr_queue_ptr 0
		.amdhsa_user_sgpr_kernarg_segment_ptr 1
		.amdhsa_user_sgpr_dispatch_id 0
		.amdhsa_user_sgpr_private_segment_size 0
		.amdhsa_wavefront_size32 1
		.amdhsa_uses_dynamic_stack 0
		.amdhsa_enable_private_segment 0
		.amdhsa_system_sgpr_workgroup_id_x 1
		.amdhsa_system_sgpr_workgroup_id_y 0
		.amdhsa_system_sgpr_workgroup_id_z 0
		.amdhsa_system_sgpr_workgroup_info 0
		.amdhsa_system_vgpr_workitem_id 0
		.amdhsa_next_free_vgpr 9
		.amdhsa_next_free_sgpr 16
		.amdhsa_reserve_vcc 1
		.amdhsa_float_round_mode_32 0
		.amdhsa_float_round_mode_16_64 0
		.amdhsa_float_denorm_mode_32 3
		.amdhsa_float_denorm_mode_16_64 3
		.amdhsa_dx10_clamp 1
		.amdhsa_ieee_mode 1
		.amdhsa_fp16_overflow 0
		.amdhsa_workgroup_processor_mode 1
		.amdhsa_memory_ordered 1
		.amdhsa_forward_progress 0
		.amdhsa_shared_vgpr_count 0
		.amdhsa_exception_fp_ieee_invalid_op 0
		.amdhsa_exception_fp_denorm_src 0
		.amdhsa_exception_fp_ieee_div_zero 0
		.amdhsa_exception_fp_ieee_overflow 0
		.amdhsa_exception_fp_ieee_underflow 0
		.amdhsa_exception_fp_ieee_inexact 0
		.amdhsa_exception_int_div_zero 0
	.end_amdhsa_kernel
	.section	.text._Z24warp_reduce_valid_kernelIfLj64ELj16EENSt9enable_ifIXsr10test_utilsE35device_test_enabled_for_warp_size_vIXT1_EEEvE4typeEPT_S4_i,"axG",@progbits,_Z24warp_reduce_valid_kernelIfLj64ELj16EENSt9enable_ifIXsr10test_utilsE35device_test_enabled_for_warp_size_vIXT1_EEEvE4typeEPT_S4_i,comdat
.Lfunc_end108:
	.size	_Z24warp_reduce_valid_kernelIfLj64ELj16EENSt9enable_ifIXsr10test_utilsE35device_test_enabled_for_warp_size_vIXT1_EEEvE4typeEPT_S4_i, .Lfunc_end108-_Z24warp_reduce_valid_kernelIfLj64ELj16EENSt9enable_ifIXsr10test_utilsE35device_test_enabled_for_warp_size_vIXT1_EEEvE4typeEPT_S4_i
                                        ; -- End function
	.section	.AMDGPU.csdata,"",@progbits
; Kernel info:
; codeLenInByte = 412
; NumSgprs: 18
; NumVgprs: 9
; ScratchSize: 0
; MemoryBound: 0
; FloatMode: 240
; IeeeMode: 1
; LDSByteSize: 0 bytes/workgroup (compile time only)
; SGPRBlocks: 2
; VGPRBlocks: 1
; NumSGPRsForWavesPerEU: 18
; NumVGPRsForWavesPerEU: 9
; Occupancy: 16
; WaveLimiterHint : 0
; COMPUTE_PGM_RSRC2:SCRATCH_EN: 0
; COMPUTE_PGM_RSRC2:USER_SGPR: 15
; COMPUTE_PGM_RSRC2:TRAP_HANDLER: 0
; COMPUTE_PGM_RSRC2:TGID_X_EN: 1
; COMPUTE_PGM_RSRC2:TGID_Y_EN: 0
; COMPUTE_PGM_RSRC2:TGID_Z_EN: 0
; COMPUTE_PGM_RSRC2:TIDIG_COMP_CNT: 0
	.section	.text._Z24warp_reduce_valid_kernelIfLj32ELj8EENSt9enable_ifIXsr10test_utilsE35device_test_enabled_for_warp_size_vIXT1_EEEvE4typeEPT_S4_i,"axG",@progbits,_Z24warp_reduce_valid_kernelIfLj32ELj8EENSt9enable_ifIXsr10test_utilsE35device_test_enabled_for_warp_size_vIXT1_EEEvE4typeEPT_S4_i,comdat
	.protected	_Z24warp_reduce_valid_kernelIfLj32ELj8EENSt9enable_ifIXsr10test_utilsE35device_test_enabled_for_warp_size_vIXT1_EEEvE4typeEPT_S4_i ; -- Begin function _Z24warp_reduce_valid_kernelIfLj32ELj8EENSt9enable_ifIXsr10test_utilsE35device_test_enabled_for_warp_size_vIXT1_EEEvE4typeEPT_S4_i
	.globl	_Z24warp_reduce_valid_kernelIfLj32ELj8EENSt9enable_ifIXsr10test_utilsE35device_test_enabled_for_warp_size_vIXT1_EEEvE4typeEPT_S4_i
	.p2align	8
	.type	_Z24warp_reduce_valid_kernelIfLj32ELj8EENSt9enable_ifIXsr10test_utilsE35device_test_enabled_for_warp_size_vIXT1_EEEvE4typeEPT_S4_i,@function
_Z24warp_reduce_valid_kernelIfLj32ELj8EENSt9enable_ifIXsr10test_utilsE35device_test_enabled_for_warp_size_vIXT1_EEEvE4typeEPT_S4_i: ; @_Z24warp_reduce_valid_kernelIfLj32ELj8EENSt9enable_ifIXsr10test_utilsE35device_test_enabled_for_warp_size_vIXT1_EEEvE4typeEPT_S4_i
; %bb.0:
	s_clause 0x1
	s_load_b32 s2, s[0:1], 0x24
	s_load_b128 s[4:7], s[0:1], 0x0
	v_mbcnt_lo_u32_b32 v5, -1, 0
	s_load_b32 s1, s[0:1], 0x10
	s_waitcnt lgkmcnt(0)
	s_and_b32 s2, s2, 0xffff
	s_delay_alu instid0(SALU_CYCLE_1) | instskip(SKIP_3) | instid1(VALU_DEP_2)
	v_mad_u64_u32 v[1:2], null, s15, s2, v[0:1]
	v_mov_b32_e32 v2, 0
	v_and_b32_e32 v0, 7, v0
	s_mov_b32 s2, exec_lo
	v_lshlrev_b64 v[2:3], 2, v[1:2]
	s_delay_alu instid0(VALU_DEP_1) | instskip(NEXT) | instid1(VALU_DEP_2)
	v_add_co_u32 v2, vcc_lo, s4, v2
	v_add_co_ci_u32_e32 v3, vcc_lo, s5, v3, vcc_lo
	global_load_b32 v2, v[2:3], off
	v_and_b32_e32 v3, 7, v5
	s_delay_alu instid0(VALU_DEP_1) | instskip(SKIP_4) | instid1(VALU_DEP_2)
	v_cmp_ne_u32_e32 vcc_lo, 7, v3
	v_cmp_gt_u32_e64 s0, 4, v3
	v_add_nc_u32_e32 v8, 2, v3
	v_add_co_ci_u32_e32 v4, vcc_lo, 0, v5, vcc_lo
	v_cmp_gt_u32_e32 vcc_lo, 6, v3
	v_lshlrev_b32_e32 v4, 2, v4
	v_cndmask_b32_e64 v6, 0, 1, vcc_lo
	s_delay_alu instid0(VALU_DEP_1) | instskip(NEXT) | instid1(VALU_DEP_1)
	v_lshlrev_b32_e32 v6, 1, v6
	v_add_lshl_u32 v6, v6, v5, 2
	s_waitcnt vmcnt(0)
	ds_bpermute_b32 v4, v4, v2
	s_waitcnt lgkmcnt(0)
	v_dual_add_f32 v4, v2, v4 :: v_dual_add_nc_u32 v7, 1, v3
	s_delay_alu instid0(VALU_DEP_1) | instskip(SKIP_2) | instid1(VALU_DEP_2)
	v_cmp_gt_u32_e32 vcc_lo, s1, v7
	v_cndmask_b32_e64 v7, 0, 1, s0
	v_cmp_gt_u32_e64 s0, s1, v8
	v_dual_cndmask_b32 v4, v2, v4 :: v_dual_lshlrev_b32 v7, 2, v7
	ds_bpermute_b32 v6, v6, v4
	v_add_lshl_u32 v5, v7, v5, 2
	s_waitcnt lgkmcnt(0)
	v_add_f32_e32 v6, v4, v6
	s_delay_alu instid0(VALU_DEP_1)
	v_cndmask_b32_e64 v4, v4, v6, s0
	ds_bpermute_b32 v5, v5, v4
	v_cmpx_eq_u32_e32 0, v0
	s_cbranch_execz .LBB109_2
; %bb.1:
	s_waitcnt lgkmcnt(0)
	v_dual_add_f32 v3, v4, v5 :: v_dual_add_nc_u32 v0, 4, v3
	v_lshrrev_b32_e32 v1, 1, v1
	s_delay_alu instid0(VALU_DEP_2) | instskip(NEXT) | instid1(VALU_DEP_1)
	v_cmp_gt_u32_e64 s0, s1, v0
	v_cndmask_b32_e64 v0, v4, v3, s0
	s_delay_alu instid0(VALU_DEP_1)
	v_dual_cndmask_b32 v0, v2, v0 :: v_dual_and_b32 v1, 0x7ffffffc, v1
	global_store_b32 v1, v0, s[6:7]
.LBB109_2:
	s_nop 0
	s_sendmsg sendmsg(MSG_DEALLOC_VGPRS)
	s_endpgm
	.section	.rodata,"a",@progbits
	.p2align	6, 0x0
	.amdhsa_kernel _Z24warp_reduce_valid_kernelIfLj32ELj8EENSt9enable_ifIXsr10test_utilsE35device_test_enabled_for_warp_size_vIXT1_EEEvE4typeEPT_S4_i
		.amdhsa_group_segment_fixed_size 0
		.amdhsa_private_segment_fixed_size 0
		.amdhsa_kernarg_size 280
		.amdhsa_user_sgpr_count 15
		.amdhsa_user_sgpr_dispatch_ptr 0
		.amdhsa_user_sgpr_queue_ptr 0
		.amdhsa_user_sgpr_kernarg_segment_ptr 1
		.amdhsa_user_sgpr_dispatch_id 0
		.amdhsa_user_sgpr_private_segment_size 0
		.amdhsa_wavefront_size32 1
		.amdhsa_uses_dynamic_stack 0
		.amdhsa_enable_private_segment 0
		.amdhsa_system_sgpr_workgroup_id_x 1
		.amdhsa_system_sgpr_workgroup_id_y 0
		.amdhsa_system_sgpr_workgroup_id_z 0
		.amdhsa_system_sgpr_workgroup_info 0
		.amdhsa_system_vgpr_workitem_id 0
		.amdhsa_next_free_vgpr 9
		.amdhsa_next_free_sgpr 16
		.amdhsa_reserve_vcc 1
		.amdhsa_float_round_mode_32 0
		.amdhsa_float_round_mode_16_64 0
		.amdhsa_float_denorm_mode_32 3
		.amdhsa_float_denorm_mode_16_64 3
		.amdhsa_dx10_clamp 1
		.amdhsa_ieee_mode 1
		.amdhsa_fp16_overflow 0
		.amdhsa_workgroup_processor_mode 1
		.amdhsa_memory_ordered 1
		.amdhsa_forward_progress 0
		.amdhsa_shared_vgpr_count 0
		.amdhsa_exception_fp_ieee_invalid_op 0
		.amdhsa_exception_fp_denorm_src 0
		.amdhsa_exception_fp_ieee_div_zero 0
		.amdhsa_exception_fp_ieee_overflow 0
		.amdhsa_exception_fp_ieee_underflow 0
		.amdhsa_exception_fp_ieee_inexact 0
		.amdhsa_exception_int_div_zero 0
	.end_amdhsa_kernel
	.section	.text._Z24warp_reduce_valid_kernelIfLj32ELj8EENSt9enable_ifIXsr10test_utilsE35device_test_enabled_for_warp_size_vIXT1_EEEvE4typeEPT_S4_i,"axG",@progbits,_Z24warp_reduce_valid_kernelIfLj32ELj8EENSt9enable_ifIXsr10test_utilsE35device_test_enabled_for_warp_size_vIXT1_EEEvE4typeEPT_S4_i,comdat
.Lfunc_end109:
	.size	_Z24warp_reduce_valid_kernelIfLj32ELj8EENSt9enable_ifIXsr10test_utilsE35device_test_enabled_for_warp_size_vIXT1_EEEvE4typeEPT_S4_i, .Lfunc_end109-_Z24warp_reduce_valid_kernelIfLj32ELj8EENSt9enable_ifIXsr10test_utilsE35device_test_enabled_for_warp_size_vIXT1_EEEvE4typeEPT_S4_i
                                        ; -- End function
	.section	.AMDGPU.csdata,"",@progbits
; Kernel info:
; codeLenInByte = 344
; NumSgprs: 18
; NumVgprs: 9
; ScratchSize: 0
; MemoryBound: 0
; FloatMode: 240
; IeeeMode: 1
; LDSByteSize: 0 bytes/workgroup (compile time only)
; SGPRBlocks: 2
; VGPRBlocks: 1
; NumSGPRsForWavesPerEU: 18
; NumVGPRsForWavesPerEU: 9
; Occupancy: 16
; WaveLimiterHint : 0
; COMPUTE_PGM_RSRC2:SCRATCH_EN: 0
; COMPUTE_PGM_RSRC2:USER_SGPR: 15
; COMPUTE_PGM_RSRC2:TRAP_HANDLER: 0
; COMPUTE_PGM_RSRC2:TGID_X_EN: 1
; COMPUTE_PGM_RSRC2:TGID_Y_EN: 0
; COMPUTE_PGM_RSRC2:TGID_Z_EN: 0
; COMPUTE_PGM_RSRC2:TIDIG_COMP_CNT: 0
	.section	.text._Z24warp_reduce_valid_kernelIfLj64ELj8EENSt9enable_ifIXsr10test_utilsE35device_test_enabled_for_warp_size_vIXT1_EEEvE4typeEPT_S4_i,"axG",@progbits,_Z24warp_reduce_valid_kernelIfLj64ELj8EENSt9enable_ifIXsr10test_utilsE35device_test_enabled_for_warp_size_vIXT1_EEEvE4typeEPT_S4_i,comdat
	.protected	_Z24warp_reduce_valid_kernelIfLj64ELj8EENSt9enable_ifIXsr10test_utilsE35device_test_enabled_for_warp_size_vIXT1_EEEvE4typeEPT_S4_i ; -- Begin function _Z24warp_reduce_valid_kernelIfLj64ELj8EENSt9enable_ifIXsr10test_utilsE35device_test_enabled_for_warp_size_vIXT1_EEEvE4typeEPT_S4_i
	.globl	_Z24warp_reduce_valid_kernelIfLj64ELj8EENSt9enable_ifIXsr10test_utilsE35device_test_enabled_for_warp_size_vIXT1_EEEvE4typeEPT_S4_i
	.p2align	8
	.type	_Z24warp_reduce_valid_kernelIfLj64ELj8EENSt9enable_ifIXsr10test_utilsE35device_test_enabled_for_warp_size_vIXT1_EEEvE4typeEPT_S4_i,@function
_Z24warp_reduce_valid_kernelIfLj64ELj8EENSt9enable_ifIXsr10test_utilsE35device_test_enabled_for_warp_size_vIXT1_EEEvE4typeEPT_S4_i: ; @_Z24warp_reduce_valid_kernelIfLj64ELj8EENSt9enable_ifIXsr10test_utilsE35device_test_enabled_for_warp_size_vIXT1_EEEvE4typeEPT_S4_i
; %bb.0:
	s_clause 0x1
	s_load_b32 s2, s[0:1], 0x24
	s_load_b128 s[4:7], s[0:1], 0x0
	v_mbcnt_lo_u32_b32 v5, -1, 0
	s_load_b32 s1, s[0:1], 0x10
	s_waitcnt lgkmcnt(0)
	s_and_b32 s2, s2, 0xffff
	s_delay_alu instid0(SALU_CYCLE_1) | instskip(SKIP_3) | instid1(VALU_DEP_2)
	v_mad_u64_u32 v[1:2], null, s15, s2, v[0:1]
	v_mov_b32_e32 v2, 0
	v_and_b32_e32 v0, 7, v0
	s_mov_b32 s2, exec_lo
	v_lshlrev_b64 v[2:3], 2, v[1:2]
	s_delay_alu instid0(VALU_DEP_1) | instskip(NEXT) | instid1(VALU_DEP_2)
	v_add_co_u32 v2, vcc_lo, s4, v2
	v_add_co_ci_u32_e32 v3, vcc_lo, s5, v3, vcc_lo
	global_load_b32 v2, v[2:3], off
	v_and_b32_e32 v3, 7, v5
	s_delay_alu instid0(VALU_DEP_1) | instskip(SKIP_4) | instid1(VALU_DEP_2)
	v_cmp_ne_u32_e32 vcc_lo, 7, v3
	v_cmp_gt_u32_e64 s0, 4, v3
	v_add_nc_u32_e32 v8, 2, v3
	v_add_co_ci_u32_e32 v4, vcc_lo, 0, v5, vcc_lo
	v_cmp_gt_u32_e32 vcc_lo, 6, v3
	v_lshlrev_b32_e32 v4, 2, v4
	v_cndmask_b32_e64 v6, 0, 1, vcc_lo
	s_delay_alu instid0(VALU_DEP_1) | instskip(NEXT) | instid1(VALU_DEP_1)
	v_lshlrev_b32_e32 v6, 1, v6
	v_add_lshl_u32 v6, v6, v5, 2
	s_waitcnt vmcnt(0)
	ds_bpermute_b32 v4, v4, v2
	s_waitcnt lgkmcnt(0)
	v_dual_add_f32 v4, v2, v4 :: v_dual_add_nc_u32 v7, 1, v3
	s_delay_alu instid0(VALU_DEP_1) | instskip(SKIP_2) | instid1(VALU_DEP_2)
	v_cmp_gt_u32_e32 vcc_lo, s1, v7
	v_cndmask_b32_e64 v7, 0, 1, s0
	v_cmp_gt_u32_e64 s0, s1, v8
	v_dual_cndmask_b32 v4, v2, v4 :: v_dual_lshlrev_b32 v7, 2, v7
	ds_bpermute_b32 v6, v6, v4
	v_add_lshl_u32 v5, v7, v5, 2
	s_waitcnt lgkmcnt(0)
	v_add_f32_e32 v6, v4, v6
	s_delay_alu instid0(VALU_DEP_1)
	v_cndmask_b32_e64 v4, v4, v6, s0
	ds_bpermute_b32 v5, v5, v4
	v_cmpx_eq_u32_e32 0, v0
	s_cbranch_execz .LBB110_2
; %bb.1:
	s_waitcnt lgkmcnt(0)
	v_dual_add_f32 v3, v4, v5 :: v_dual_add_nc_u32 v0, 4, v3
	v_lshrrev_b32_e32 v1, 1, v1
	s_delay_alu instid0(VALU_DEP_2) | instskip(NEXT) | instid1(VALU_DEP_1)
	v_cmp_gt_u32_e64 s0, s1, v0
	v_cndmask_b32_e64 v0, v4, v3, s0
	s_delay_alu instid0(VALU_DEP_1)
	v_dual_cndmask_b32 v0, v2, v0 :: v_dual_and_b32 v1, 0x7ffffffc, v1
	global_store_b32 v1, v0, s[6:7]
.LBB110_2:
	s_nop 0
	s_sendmsg sendmsg(MSG_DEALLOC_VGPRS)
	s_endpgm
	.section	.rodata,"a",@progbits
	.p2align	6, 0x0
	.amdhsa_kernel _Z24warp_reduce_valid_kernelIfLj64ELj8EENSt9enable_ifIXsr10test_utilsE35device_test_enabled_for_warp_size_vIXT1_EEEvE4typeEPT_S4_i
		.amdhsa_group_segment_fixed_size 0
		.amdhsa_private_segment_fixed_size 0
		.amdhsa_kernarg_size 280
		.amdhsa_user_sgpr_count 15
		.amdhsa_user_sgpr_dispatch_ptr 0
		.amdhsa_user_sgpr_queue_ptr 0
		.amdhsa_user_sgpr_kernarg_segment_ptr 1
		.amdhsa_user_sgpr_dispatch_id 0
		.amdhsa_user_sgpr_private_segment_size 0
		.amdhsa_wavefront_size32 1
		.amdhsa_uses_dynamic_stack 0
		.amdhsa_enable_private_segment 0
		.amdhsa_system_sgpr_workgroup_id_x 1
		.amdhsa_system_sgpr_workgroup_id_y 0
		.amdhsa_system_sgpr_workgroup_id_z 0
		.amdhsa_system_sgpr_workgroup_info 0
		.amdhsa_system_vgpr_workitem_id 0
		.amdhsa_next_free_vgpr 9
		.amdhsa_next_free_sgpr 16
		.amdhsa_reserve_vcc 1
		.amdhsa_float_round_mode_32 0
		.amdhsa_float_round_mode_16_64 0
		.amdhsa_float_denorm_mode_32 3
		.amdhsa_float_denorm_mode_16_64 3
		.amdhsa_dx10_clamp 1
		.amdhsa_ieee_mode 1
		.amdhsa_fp16_overflow 0
		.amdhsa_workgroup_processor_mode 1
		.amdhsa_memory_ordered 1
		.amdhsa_forward_progress 0
		.amdhsa_shared_vgpr_count 0
		.amdhsa_exception_fp_ieee_invalid_op 0
		.amdhsa_exception_fp_denorm_src 0
		.amdhsa_exception_fp_ieee_div_zero 0
		.amdhsa_exception_fp_ieee_overflow 0
		.amdhsa_exception_fp_ieee_underflow 0
		.amdhsa_exception_fp_ieee_inexact 0
		.amdhsa_exception_int_div_zero 0
	.end_amdhsa_kernel
	.section	.text._Z24warp_reduce_valid_kernelIfLj64ELj8EENSt9enable_ifIXsr10test_utilsE35device_test_enabled_for_warp_size_vIXT1_EEEvE4typeEPT_S4_i,"axG",@progbits,_Z24warp_reduce_valid_kernelIfLj64ELj8EENSt9enable_ifIXsr10test_utilsE35device_test_enabled_for_warp_size_vIXT1_EEEvE4typeEPT_S4_i,comdat
.Lfunc_end110:
	.size	_Z24warp_reduce_valid_kernelIfLj64ELj8EENSt9enable_ifIXsr10test_utilsE35device_test_enabled_for_warp_size_vIXT1_EEEvE4typeEPT_S4_i, .Lfunc_end110-_Z24warp_reduce_valid_kernelIfLj64ELj8EENSt9enable_ifIXsr10test_utilsE35device_test_enabled_for_warp_size_vIXT1_EEEvE4typeEPT_S4_i
                                        ; -- End function
	.section	.AMDGPU.csdata,"",@progbits
; Kernel info:
; codeLenInByte = 344
; NumSgprs: 18
; NumVgprs: 9
; ScratchSize: 0
; MemoryBound: 0
; FloatMode: 240
; IeeeMode: 1
; LDSByteSize: 0 bytes/workgroup (compile time only)
; SGPRBlocks: 2
; VGPRBlocks: 1
; NumSGPRsForWavesPerEU: 18
; NumVGPRsForWavesPerEU: 9
; Occupancy: 16
; WaveLimiterHint : 0
; COMPUTE_PGM_RSRC2:SCRATCH_EN: 0
; COMPUTE_PGM_RSRC2:USER_SGPR: 15
; COMPUTE_PGM_RSRC2:TRAP_HANDLER: 0
; COMPUTE_PGM_RSRC2:TGID_X_EN: 1
; COMPUTE_PGM_RSRC2:TGID_Y_EN: 0
; COMPUTE_PGM_RSRC2:TGID_Z_EN: 0
; COMPUTE_PGM_RSRC2:TIDIG_COMP_CNT: 0
	.section	.text._Z24warp_reduce_valid_kernelIfLj32ELj4EENSt9enable_ifIXsr10test_utilsE35device_test_enabled_for_warp_size_vIXT1_EEEvE4typeEPT_S4_i,"axG",@progbits,_Z24warp_reduce_valid_kernelIfLj32ELj4EENSt9enable_ifIXsr10test_utilsE35device_test_enabled_for_warp_size_vIXT1_EEEvE4typeEPT_S4_i,comdat
	.protected	_Z24warp_reduce_valid_kernelIfLj32ELj4EENSt9enable_ifIXsr10test_utilsE35device_test_enabled_for_warp_size_vIXT1_EEEvE4typeEPT_S4_i ; -- Begin function _Z24warp_reduce_valid_kernelIfLj32ELj4EENSt9enable_ifIXsr10test_utilsE35device_test_enabled_for_warp_size_vIXT1_EEEvE4typeEPT_S4_i
	.globl	_Z24warp_reduce_valid_kernelIfLj32ELj4EENSt9enable_ifIXsr10test_utilsE35device_test_enabled_for_warp_size_vIXT1_EEEvE4typeEPT_S4_i
	.p2align	8
	.type	_Z24warp_reduce_valid_kernelIfLj32ELj4EENSt9enable_ifIXsr10test_utilsE35device_test_enabled_for_warp_size_vIXT1_EEEvE4typeEPT_S4_i,@function
_Z24warp_reduce_valid_kernelIfLj32ELj4EENSt9enable_ifIXsr10test_utilsE35device_test_enabled_for_warp_size_vIXT1_EEEvE4typeEPT_S4_i: ; @_Z24warp_reduce_valid_kernelIfLj32ELj4EENSt9enable_ifIXsr10test_utilsE35device_test_enabled_for_warp_size_vIXT1_EEEvE4typeEPT_S4_i
; %bb.0:
	s_clause 0x1
	s_load_b32 s2, s[0:1], 0x24
	s_load_b128 s[4:7], s[0:1], 0x0
	v_mbcnt_lo_u32_b32 v5, -1, 0
	s_load_b32 s1, s[0:1], 0x10
	s_waitcnt lgkmcnt(0)
	s_and_b32 s2, s2, 0xffff
	s_delay_alu instid0(SALU_CYCLE_1) | instskip(SKIP_3) | instid1(VALU_DEP_2)
	v_mad_u64_u32 v[1:2], null, s15, s2, v[0:1]
	v_mov_b32_e32 v2, 0
	v_and_b32_e32 v0, 3, v0
	s_mov_b32 s2, exec_lo
	v_lshlrev_b64 v[2:3], 2, v[1:2]
	s_delay_alu instid0(VALU_DEP_1) | instskip(NEXT) | instid1(VALU_DEP_2)
	v_add_co_u32 v2, vcc_lo, s4, v2
	v_add_co_ci_u32_e32 v3, vcc_lo, s5, v3, vcc_lo
	global_load_b32 v2, v[2:3], off
	v_and_b32_e32 v3, 3, v5
	s_delay_alu instid0(VALU_DEP_1) | instskip(SKIP_2) | instid1(VALU_DEP_2)
	v_cmp_ne_u32_e32 vcc_lo, 3, v3
	v_add_co_ci_u32_e32 v4, vcc_lo, 0, v5, vcc_lo
	v_cmp_gt_u32_e32 vcc_lo, 2, v3
	v_lshlrev_b32_e32 v4, 2, v4
	v_cndmask_b32_e64 v6, 0, 1, vcc_lo
	s_delay_alu instid0(VALU_DEP_1) | instskip(NEXT) | instid1(VALU_DEP_1)
	v_lshlrev_b32_e32 v6, 1, v6
	v_add_lshl_u32 v5, v6, v5, 2
	s_waitcnt vmcnt(0)
	ds_bpermute_b32 v4, v4, v2
	s_waitcnt lgkmcnt(0)
	v_dual_add_f32 v4, v2, v4 :: v_dual_add_nc_u32 v7, 1, v3
	s_delay_alu instid0(VALU_DEP_1) | instskip(NEXT) | instid1(VALU_DEP_2)
	v_cmp_gt_u32_e32 vcc_lo, s1, v7
	v_cndmask_b32_e32 v4, v2, v4, vcc_lo
	ds_bpermute_b32 v5, v5, v4
	v_cmpx_eq_u32_e32 0, v0
	s_cbranch_execz .LBB111_2
; %bb.1:
	s_waitcnt lgkmcnt(0)
	v_dual_add_f32 v3, v4, v5 :: v_dual_add_nc_u32 v0, 2, v3
	s_delay_alu instid0(VALU_DEP_1) | instskip(NEXT) | instid1(VALU_DEP_1)
	v_cmp_gt_u32_e64 s0, s1, v0
	v_cndmask_b32_e64 v0, v4, v3, s0
	s_delay_alu instid0(VALU_DEP_1)
	v_dual_cndmask_b32 v0, v2, v0 :: v_dual_and_b32 v1, -4, v1
	global_store_b32 v1, v0, s[6:7]
.LBB111_2:
	s_nop 0
	s_sendmsg sendmsg(MSG_DEALLOC_VGPRS)
	s_endpgm
	.section	.rodata,"a",@progbits
	.p2align	6, 0x0
	.amdhsa_kernel _Z24warp_reduce_valid_kernelIfLj32ELj4EENSt9enable_ifIXsr10test_utilsE35device_test_enabled_for_warp_size_vIXT1_EEEvE4typeEPT_S4_i
		.amdhsa_group_segment_fixed_size 0
		.amdhsa_private_segment_fixed_size 0
		.amdhsa_kernarg_size 280
		.amdhsa_user_sgpr_count 15
		.amdhsa_user_sgpr_dispatch_ptr 0
		.amdhsa_user_sgpr_queue_ptr 0
		.amdhsa_user_sgpr_kernarg_segment_ptr 1
		.amdhsa_user_sgpr_dispatch_id 0
		.amdhsa_user_sgpr_private_segment_size 0
		.amdhsa_wavefront_size32 1
		.amdhsa_uses_dynamic_stack 0
		.amdhsa_enable_private_segment 0
		.amdhsa_system_sgpr_workgroup_id_x 1
		.amdhsa_system_sgpr_workgroup_id_y 0
		.amdhsa_system_sgpr_workgroup_id_z 0
		.amdhsa_system_sgpr_workgroup_info 0
		.amdhsa_system_vgpr_workitem_id 0
		.amdhsa_next_free_vgpr 8
		.amdhsa_next_free_sgpr 16
		.amdhsa_reserve_vcc 1
		.amdhsa_float_round_mode_32 0
		.amdhsa_float_round_mode_16_64 0
		.amdhsa_float_denorm_mode_32 3
		.amdhsa_float_denorm_mode_16_64 3
		.amdhsa_dx10_clamp 1
		.amdhsa_ieee_mode 1
		.amdhsa_fp16_overflow 0
		.amdhsa_workgroup_processor_mode 1
		.amdhsa_memory_ordered 1
		.amdhsa_forward_progress 0
		.amdhsa_shared_vgpr_count 0
		.amdhsa_exception_fp_ieee_invalid_op 0
		.amdhsa_exception_fp_denorm_src 0
		.amdhsa_exception_fp_ieee_div_zero 0
		.amdhsa_exception_fp_ieee_overflow 0
		.amdhsa_exception_fp_ieee_underflow 0
		.amdhsa_exception_fp_ieee_inexact 0
		.amdhsa_exception_int_div_zero 0
	.end_amdhsa_kernel
	.section	.text._Z24warp_reduce_valid_kernelIfLj32ELj4EENSt9enable_ifIXsr10test_utilsE35device_test_enabled_for_warp_size_vIXT1_EEEvE4typeEPT_S4_i,"axG",@progbits,_Z24warp_reduce_valid_kernelIfLj32ELj4EENSt9enable_ifIXsr10test_utilsE35device_test_enabled_for_warp_size_vIXT1_EEEvE4typeEPT_S4_i,comdat
.Lfunc_end111:
	.size	_Z24warp_reduce_valid_kernelIfLj32ELj4EENSt9enable_ifIXsr10test_utilsE35device_test_enabled_for_warp_size_vIXT1_EEEvE4typeEPT_S4_i, .Lfunc_end111-_Z24warp_reduce_valid_kernelIfLj32ELj4EENSt9enable_ifIXsr10test_utilsE35device_test_enabled_for_warp_size_vIXT1_EEEvE4typeEPT_S4_i
                                        ; -- End function
	.section	.AMDGPU.csdata,"",@progbits
; Kernel info:
; codeLenInByte = 268
; NumSgprs: 18
; NumVgprs: 8
; ScratchSize: 0
; MemoryBound: 0
; FloatMode: 240
; IeeeMode: 1
; LDSByteSize: 0 bytes/workgroup (compile time only)
; SGPRBlocks: 2
; VGPRBlocks: 0
; NumSGPRsForWavesPerEU: 18
; NumVGPRsForWavesPerEU: 8
; Occupancy: 16
; WaveLimiterHint : 0
; COMPUTE_PGM_RSRC2:SCRATCH_EN: 0
; COMPUTE_PGM_RSRC2:USER_SGPR: 15
; COMPUTE_PGM_RSRC2:TRAP_HANDLER: 0
; COMPUTE_PGM_RSRC2:TGID_X_EN: 1
; COMPUTE_PGM_RSRC2:TGID_Y_EN: 0
; COMPUTE_PGM_RSRC2:TGID_Z_EN: 0
; COMPUTE_PGM_RSRC2:TIDIG_COMP_CNT: 0
	.section	.text._Z24warp_reduce_valid_kernelIfLj64ELj4EENSt9enable_ifIXsr10test_utilsE35device_test_enabled_for_warp_size_vIXT1_EEEvE4typeEPT_S4_i,"axG",@progbits,_Z24warp_reduce_valid_kernelIfLj64ELj4EENSt9enable_ifIXsr10test_utilsE35device_test_enabled_for_warp_size_vIXT1_EEEvE4typeEPT_S4_i,comdat
	.protected	_Z24warp_reduce_valid_kernelIfLj64ELj4EENSt9enable_ifIXsr10test_utilsE35device_test_enabled_for_warp_size_vIXT1_EEEvE4typeEPT_S4_i ; -- Begin function _Z24warp_reduce_valid_kernelIfLj64ELj4EENSt9enable_ifIXsr10test_utilsE35device_test_enabled_for_warp_size_vIXT1_EEEvE4typeEPT_S4_i
	.globl	_Z24warp_reduce_valid_kernelIfLj64ELj4EENSt9enable_ifIXsr10test_utilsE35device_test_enabled_for_warp_size_vIXT1_EEEvE4typeEPT_S4_i
	.p2align	8
	.type	_Z24warp_reduce_valid_kernelIfLj64ELj4EENSt9enable_ifIXsr10test_utilsE35device_test_enabled_for_warp_size_vIXT1_EEEvE4typeEPT_S4_i,@function
_Z24warp_reduce_valid_kernelIfLj64ELj4EENSt9enable_ifIXsr10test_utilsE35device_test_enabled_for_warp_size_vIXT1_EEEvE4typeEPT_S4_i: ; @_Z24warp_reduce_valid_kernelIfLj64ELj4EENSt9enable_ifIXsr10test_utilsE35device_test_enabled_for_warp_size_vIXT1_EEEvE4typeEPT_S4_i
; %bb.0:
	s_clause 0x1
	s_load_b32 s2, s[0:1], 0x24
	s_load_b128 s[4:7], s[0:1], 0x0
	v_mbcnt_lo_u32_b32 v5, -1, 0
	s_load_b32 s1, s[0:1], 0x10
	s_waitcnt lgkmcnt(0)
	s_and_b32 s2, s2, 0xffff
	s_delay_alu instid0(SALU_CYCLE_1) | instskip(SKIP_3) | instid1(VALU_DEP_2)
	v_mad_u64_u32 v[1:2], null, s15, s2, v[0:1]
	v_mov_b32_e32 v2, 0
	v_and_b32_e32 v0, 3, v0
	s_mov_b32 s2, exec_lo
	v_lshlrev_b64 v[2:3], 2, v[1:2]
	s_delay_alu instid0(VALU_DEP_1) | instskip(NEXT) | instid1(VALU_DEP_2)
	v_add_co_u32 v2, vcc_lo, s4, v2
	v_add_co_ci_u32_e32 v3, vcc_lo, s5, v3, vcc_lo
	global_load_b32 v2, v[2:3], off
	v_and_b32_e32 v3, 3, v5
	s_delay_alu instid0(VALU_DEP_1) | instskip(SKIP_2) | instid1(VALU_DEP_2)
	v_cmp_ne_u32_e32 vcc_lo, 3, v3
	v_add_co_ci_u32_e32 v4, vcc_lo, 0, v5, vcc_lo
	v_cmp_gt_u32_e32 vcc_lo, 2, v3
	v_lshlrev_b32_e32 v4, 2, v4
	v_cndmask_b32_e64 v6, 0, 1, vcc_lo
	s_delay_alu instid0(VALU_DEP_1) | instskip(NEXT) | instid1(VALU_DEP_1)
	v_lshlrev_b32_e32 v6, 1, v6
	v_add_lshl_u32 v5, v6, v5, 2
	s_waitcnt vmcnt(0)
	ds_bpermute_b32 v4, v4, v2
	s_waitcnt lgkmcnt(0)
	v_dual_add_f32 v4, v2, v4 :: v_dual_add_nc_u32 v7, 1, v3
	s_delay_alu instid0(VALU_DEP_1) | instskip(NEXT) | instid1(VALU_DEP_2)
	v_cmp_gt_u32_e32 vcc_lo, s1, v7
	v_cndmask_b32_e32 v4, v2, v4, vcc_lo
	ds_bpermute_b32 v5, v5, v4
	v_cmpx_eq_u32_e32 0, v0
	s_cbranch_execz .LBB112_2
; %bb.1:
	s_waitcnt lgkmcnt(0)
	v_dual_add_f32 v3, v4, v5 :: v_dual_add_nc_u32 v0, 2, v3
	s_delay_alu instid0(VALU_DEP_1) | instskip(NEXT) | instid1(VALU_DEP_1)
	v_cmp_gt_u32_e64 s0, s1, v0
	v_cndmask_b32_e64 v0, v4, v3, s0
	s_delay_alu instid0(VALU_DEP_1)
	v_dual_cndmask_b32 v0, v2, v0 :: v_dual_and_b32 v1, -4, v1
	global_store_b32 v1, v0, s[6:7]
.LBB112_2:
	s_nop 0
	s_sendmsg sendmsg(MSG_DEALLOC_VGPRS)
	s_endpgm
	.section	.rodata,"a",@progbits
	.p2align	6, 0x0
	.amdhsa_kernel _Z24warp_reduce_valid_kernelIfLj64ELj4EENSt9enable_ifIXsr10test_utilsE35device_test_enabled_for_warp_size_vIXT1_EEEvE4typeEPT_S4_i
		.amdhsa_group_segment_fixed_size 0
		.amdhsa_private_segment_fixed_size 0
		.amdhsa_kernarg_size 280
		.amdhsa_user_sgpr_count 15
		.amdhsa_user_sgpr_dispatch_ptr 0
		.amdhsa_user_sgpr_queue_ptr 0
		.amdhsa_user_sgpr_kernarg_segment_ptr 1
		.amdhsa_user_sgpr_dispatch_id 0
		.amdhsa_user_sgpr_private_segment_size 0
		.amdhsa_wavefront_size32 1
		.amdhsa_uses_dynamic_stack 0
		.amdhsa_enable_private_segment 0
		.amdhsa_system_sgpr_workgroup_id_x 1
		.amdhsa_system_sgpr_workgroup_id_y 0
		.amdhsa_system_sgpr_workgroup_id_z 0
		.amdhsa_system_sgpr_workgroup_info 0
		.amdhsa_system_vgpr_workitem_id 0
		.amdhsa_next_free_vgpr 8
		.amdhsa_next_free_sgpr 16
		.amdhsa_reserve_vcc 1
		.amdhsa_float_round_mode_32 0
		.amdhsa_float_round_mode_16_64 0
		.amdhsa_float_denorm_mode_32 3
		.amdhsa_float_denorm_mode_16_64 3
		.amdhsa_dx10_clamp 1
		.amdhsa_ieee_mode 1
		.amdhsa_fp16_overflow 0
		.amdhsa_workgroup_processor_mode 1
		.amdhsa_memory_ordered 1
		.amdhsa_forward_progress 0
		.amdhsa_shared_vgpr_count 0
		.amdhsa_exception_fp_ieee_invalid_op 0
		.amdhsa_exception_fp_denorm_src 0
		.amdhsa_exception_fp_ieee_div_zero 0
		.amdhsa_exception_fp_ieee_overflow 0
		.amdhsa_exception_fp_ieee_underflow 0
		.amdhsa_exception_fp_ieee_inexact 0
		.amdhsa_exception_int_div_zero 0
	.end_amdhsa_kernel
	.section	.text._Z24warp_reduce_valid_kernelIfLj64ELj4EENSt9enable_ifIXsr10test_utilsE35device_test_enabled_for_warp_size_vIXT1_EEEvE4typeEPT_S4_i,"axG",@progbits,_Z24warp_reduce_valid_kernelIfLj64ELj4EENSt9enable_ifIXsr10test_utilsE35device_test_enabled_for_warp_size_vIXT1_EEEvE4typeEPT_S4_i,comdat
.Lfunc_end112:
	.size	_Z24warp_reduce_valid_kernelIfLj64ELj4EENSt9enable_ifIXsr10test_utilsE35device_test_enabled_for_warp_size_vIXT1_EEEvE4typeEPT_S4_i, .Lfunc_end112-_Z24warp_reduce_valid_kernelIfLj64ELj4EENSt9enable_ifIXsr10test_utilsE35device_test_enabled_for_warp_size_vIXT1_EEEvE4typeEPT_S4_i
                                        ; -- End function
	.section	.AMDGPU.csdata,"",@progbits
; Kernel info:
; codeLenInByte = 268
; NumSgprs: 18
; NumVgprs: 8
; ScratchSize: 0
; MemoryBound: 0
; FloatMode: 240
; IeeeMode: 1
; LDSByteSize: 0 bytes/workgroup (compile time only)
; SGPRBlocks: 2
; VGPRBlocks: 0
; NumSGPRsForWavesPerEU: 18
; NumVGPRsForWavesPerEU: 8
; Occupancy: 16
; WaveLimiterHint : 0
; COMPUTE_PGM_RSRC2:SCRATCH_EN: 0
; COMPUTE_PGM_RSRC2:USER_SGPR: 15
; COMPUTE_PGM_RSRC2:TRAP_HANDLER: 0
; COMPUTE_PGM_RSRC2:TGID_X_EN: 1
; COMPUTE_PGM_RSRC2:TGID_Y_EN: 0
; COMPUTE_PGM_RSRC2:TGID_Z_EN: 0
; COMPUTE_PGM_RSRC2:TIDIG_COMP_CNT: 0
	.section	.text._Z24warp_reduce_valid_kernelIfLj32ELj2EENSt9enable_ifIXsr10test_utilsE35device_test_enabled_for_warp_size_vIXT1_EEEvE4typeEPT_S4_i,"axG",@progbits,_Z24warp_reduce_valid_kernelIfLj32ELj2EENSt9enable_ifIXsr10test_utilsE35device_test_enabled_for_warp_size_vIXT1_EEEvE4typeEPT_S4_i,comdat
	.protected	_Z24warp_reduce_valid_kernelIfLj32ELj2EENSt9enable_ifIXsr10test_utilsE35device_test_enabled_for_warp_size_vIXT1_EEEvE4typeEPT_S4_i ; -- Begin function _Z24warp_reduce_valid_kernelIfLj32ELj2EENSt9enable_ifIXsr10test_utilsE35device_test_enabled_for_warp_size_vIXT1_EEEvE4typeEPT_S4_i
	.globl	_Z24warp_reduce_valid_kernelIfLj32ELj2EENSt9enable_ifIXsr10test_utilsE35device_test_enabled_for_warp_size_vIXT1_EEEvE4typeEPT_S4_i
	.p2align	8
	.type	_Z24warp_reduce_valid_kernelIfLj32ELj2EENSt9enable_ifIXsr10test_utilsE35device_test_enabled_for_warp_size_vIXT1_EEEvE4typeEPT_S4_i,@function
_Z24warp_reduce_valid_kernelIfLj32ELj2EENSt9enable_ifIXsr10test_utilsE35device_test_enabled_for_warp_size_vIXT1_EEEvE4typeEPT_S4_i: ; @_Z24warp_reduce_valid_kernelIfLj32ELj2EENSt9enable_ifIXsr10test_utilsE35device_test_enabled_for_warp_size_vIXT1_EEEvE4typeEPT_S4_i
; %bb.0:
	s_clause 0x1
	s_load_b32 s2, s[0:1], 0x24
	s_load_b128 s[4:7], s[0:1], 0x0
	v_mbcnt_lo_u32_b32 v5, -1, 0
	s_waitcnt lgkmcnt(0)
	s_and_b32 s2, s2, 0xffff
	s_delay_alu instid0(SALU_CYCLE_1) | instskip(SKIP_3) | instid1(VALU_DEP_2)
	v_mad_u64_u32 v[1:2], null, s15, s2, v[0:1]
	v_mov_b32_e32 v2, 0
	v_and_b32_e32 v0, 1, v0
	s_mov_b32 s2, exec_lo
	v_lshlrev_b64 v[3:4], 2, v[1:2]
	s_delay_alu instid0(VALU_DEP_1) | instskip(NEXT) | instid1(VALU_DEP_2)
	v_add_co_u32 v3, vcc_lo, s4, v3
	v_add_co_ci_u32_e32 v4, vcc_lo, s5, v4, vcc_lo
	global_load_b32 v3, v[3:4], off
	v_lshl_or_b32 v4, v5, 2, 4
	s_waitcnt vmcnt(0)
	ds_bpermute_b32 v4, v4, v3
	v_cmpx_eq_u32_e32 0, v0
	s_cbranch_execz .LBB113_2
; %bb.1:
	s_load_b32 s0, s[0:1], 0x10
	v_lshrrev_b32_e32 v1, 1, v1
	v_and_b32_e32 v5, 1, v5
	s_delay_alu instid0(VALU_DEP_2) | instskip(SKIP_2) | instid1(VALU_DEP_3)
	v_lshlrev_b64 v[0:1], 2, v[1:2]
	s_waitcnt lgkmcnt(0)
	v_add_f32_e32 v2, v3, v4
	v_add_nc_u32_e32 v4, 1, v5
	s_delay_alu instid0(VALU_DEP_3) | instskip(NEXT) | instid1(VALU_DEP_4)
	v_add_co_u32 v0, vcc_lo, s6, v0
	v_add_co_ci_u32_e32 v1, vcc_lo, s7, v1, vcc_lo
	s_delay_alu instid0(VALU_DEP_3)
	v_cmp_gt_u32_e32 vcc_lo, s0, v4
	v_cndmask_b32_e32 v2, v3, v2, vcc_lo
	global_store_b32 v[0:1], v2, off
.LBB113_2:
	s_nop 0
	s_sendmsg sendmsg(MSG_DEALLOC_VGPRS)
	s_endpgm
	.section	.rodata,"a",@progbits
	.p2align	6, 0x0
	.amdhsa_kernel _Z24warp_reduce_valid_kernelIfLj32ELj2EENSt9enable_ifIXsr10test_utilsE35device_test_enabled_for_warp_size_vIXT1_EEEvE4typeEPT_S4_i
		.amdhsa_group_segment_fixed_size 0
		.amdhsa_private_segment_fixed_size 0
		.amdhsa_kernarg_size 280
		.amdhsa_user_sgpr_count 15
		.amdhsa_user_sgpr_dispatch_ptr 0
		.amdhsa_user_sgpr_queue_ptr 0
		.amdhsa_user_sgpr_kernarg_segment_ptr 1
		.amdhsa_user_sgpr_dispatch_id 0
		.amdhsa_user_sgpr_private_segment_size 0
		.amdhsa_wavefront_size32 1
		.amdhsa_uses_dynamic_stack 0
		.amdhsa_enable_private_segment 0
		.amdhsa_system_sgpr_workgroup_id_x 1
		.amdhsa_system_sgpr_workgroup_id_y 0
		.amdhsa_system_sgpr_workgroup_id_z 0
		.amdhsa_system_sgpr_workgroup_info 0
		.amdhsa_system_vgpr_workitem_id 0
		.amdhsa_next_free_vgpr 6
		.amdhsa_next_free_sgpr 16
		.amdhsa_reserve_vcc 1
		.amdhsa_float_round_mode_32 0
		.amdhsa_float_round_mode_16_64 0
		.amdhsa_float_denorm_mode_32 3
		.amdhsa_float_denorm_mode_16_64 3
		.amdhsa_dx10_clamp 1
		.amdhsa_ieee_mode 1
		.amdhsa_fp16_overflow 0
		.amdhsa_workgroup_processor_mode 1
		.amdhsa_memory_ordered 1
		.amdhsa_forward_progress 0
		.amdhsa_shared_vgpr_count 0
		.amdhsa_exception_fp_ieee_invalid_op 0
		.amdhsa_exception_fp_denorm_src 0
		.amdhsa_exception_fp_ieee_div_zero 0
		.amdhsa_exception_fp_ieee_overflow 0
		.amdhsa_exception_fp_ieee_underflow 0
		.amdhsa_exception_fp_ieee_inexact 0
		.amdhsa_exception_int_div_zero 0
	.end_amdhsa_kernel
	.section	.text._Z24warp_reduce_valid_kernelIfLj32ELj2EENSt9enable_ifIXsr10test_utilsE35device_test_enabled_for_warp_size_vIXT1_EEEvE4typeEPT_S4_i,"axG",@progbits,_Z24warp_reduce_valid_kernelIfLj32ELj2EENSt9enable_ifIXsr10test_utilsE35device_test_enabled_for_warp_size_vIXT1_EEEvE4typeEPT_S4_i,comdat
.Lfunc_end113:
	.size	_Z24warp_reduce_valid_kernelIfLj32ELj2EENSt9enable_ifIXsr10test_utilsE35device_test_enabled_for_warp_size_vIXT1_EEEvE4typeEPT_S4_i, .Lfunc_end113-_Z24warp_reduce_valid_kernelIfLj32ELj2EENSt9enable_ifIXsr10test_utilsE35device_test_enabled_for_warp_size_vIXT1_EEEvE4typeEPT_S4_i
                                        ; -- End function
	.section	.AMDGPU.csdata,"",@progbits
; Kernel info:
; codeLenInByte = 212
; NumSgprs: 18
; NumVgprs: 6
; ScratchSize: 0
; MemoryBound: 0
; FloatMode: 240
; IeeeMode: 1
; LDSByteSize: 0 bytes/workgroup (compile time only)
; SGPRBlocks: 2
; VGPRBlocks: 0
; NumSGPRsForWavesPerEU: 18
; NumVGPRsForWavesPerEU: 6
; Occupancy: 16
; WaveLimiterHint : 0
; COMPUTE_PGM_RSRC2:SCRATCH_EN: 0
; COMPUTE_PGM_RSRC2:USER_SGPR: 15
; COMPUTE_PGM_RSRC2:TRAP_HANDLER: 0
; COMPUTE_PGM_RSRC2:TGID_X_EN: 1
; COMPUTE_PGM_RSRC2:TGID_Y_EN: 0
; COMPUTE_PGM_RSRC2:TGID_Z_EN: 0
; COMPUTE_PGM_RSRC2:TIDIG_COMP_CNT: 0
	.section	.text._Z24warp_reduce_valid_kernelIfLj64ELj2EENSt9enable_ifIXsr10test_utilsE35device_test_enabled_for_warp_size_vIXT1_EEEvE4typeEPT_S4_i,"axG",@progbits,_Z24warp_reduce_valid_kernelIfLj64ELj2EENSt9enable_ifIXsr10test_utilsE35device_test_enabled_for_warp_size_vIXT1_EEEvE4typeEPT_S4_i,comdat
	.protected	_Z24warp_reduce_valid_kernelIfLj64ELj2EENSt9enable_ifIXsr10test_utilsE35device_test_enabled_for_warp_size_vIXT1_EEEvE4typeEPT_S4_i ; -- Begin function _Z24warp_reduce_valid_kernelIfLj64ELj2EENSt9enable_ifIXsr10test_utilsE35device_test_enabled_for_warp_size_vIXT1_EEEvE4typeEPT_S4_i
	.globl	_Z24warp_reduce_valid_kernelIfLj64ELj2EENSt9enable_ifIXsr10test_utilsE35device_test_enabled_for_warp_size_vIXT1_EEEvE4typeEPT_S4_i
	.p2align	8
	.type	_Z24warp_reduce_valid_kernelIfLj64ELj2EENSt9enable_ifIXsr10test_utilsE35device_test_enabled_for_warp_size_vIXT1_EEEvE4typeEPT_S4_i,@function
_Z24warp_reduce_valid_kernelIfLj64ELj2EENSt9enable_ifIXsr10test_utilsE35device_test_enabled_for_warp_size_vIXT1_EEEvE4typeEPT_S4_i: ; @_Z24warp_reduce_valid_kernelIfLj64ELj2EENSt9enable_ifIXsr10test_utilsE35device_test_enabled_for_warp_size_vIXT1_EEEvE4typeEPT_S4_i
; %bb.0:
	s_clause 0x1
	s_load_b32 s2, s[0:1], 0x24
	s_load_b128 s[4:7], s[0:1], 0x0
	v_mbcnt_lo_u32_b32 v5, -1, 0
	s_waitcnt lgkmcnt(0)
	s_and_b32 s2, s2, 0xffff
	s_delay_alu instid0(SALU_CYCLE_1) | instskip(SKIP_3) | instid1(VALU_DEP_2)
	v_mad_u64_u32 v[1:2], null, s15, s2, v[0:1]
	v_mov_b32_e32 v2, 0
	v_and_b32_e32 v0, 1, v0
	s_mov_b32 s2, exec_lo
	v_lshlrev_b64 v[3:4], 2, v[1:2]
	s_delay_alu instid0(VALU_DEP_1) | instskip(NEXT) | instid1(VALU_DEP_2)
	v_add_co_u32 v3, vcc_lo, s4, v3
	v_add_co_ci_u32_e32 v4, vcc_lo, s5, v4, vcc_lo
	global_load_b32 v3, v[3:4], off
	v_lshl_or_b32 v4, v5, 2, 4
	s_waitcnt vmcnt(0)
	ds_bpermute_b32 v4, v4, v3
	v_cmpx_eq_u32_e32 0, v0
	s_cbranch_execz .LBB114_2
; %bb.1:
	s_load_b32 s0, s[0:1], 0x10
	v_lshrrev_b32_e32 v1, 1, v1
	v_and_b32_e32 v5, 1, v5
	s_delay_alu instid0(VALU_DEP_2) | instskip(SKIP_2) | instid1(VALU_DEP_3)
	v_lshlrev_b64 v[0:1], 2, v[1:2]
	s_waitcnt lgkmcnt(0)
	v_add_f32_e32 v2, v3, v4
	v_add_nc_u32_e32 v4, 1, v5
	s_delay_alu instid0(VALU_DEP_3) | instskip(NEXT) | instid1(VALU_DEP_4)
	v_add_co_u32 v0, vcc_lo, s6, v0
	v_add_co_ci_u32_e32 v1, vcc_lo, s7, v1, vcc_lo
	s_delay_alu instid0(VALU_DEP_3)
	v_cmp_gt_u32_e32 vcc_lo, s0, v4
	v_cndmask_b32_e32 v2, v3, v2, vcc_lo
	global_store_b32 v[0:1], v2, off
.LBB114_2:
	s_nop 0
	s_sendmsg sendmsg(MSG_DEALLOC_VGPRS)
	s_endpgm
	.section	.rodata,"a",@progbits
	.p2align	6, 0x0
	.amdhsa_kernel _Z24warp_reduce_valid_kernelIfLj64ELj2EENSt9enable_ifIXsr10test_utilsE35device_test_enabled_for_warp_size_vIXT1_EEEvE4typeEPT_S4_i
		.amdhsa_group_segment_fixed_size 0
		.amdhsa_private_segment_fixed_size 0
		.amdhsa_kernarg_size 280
		.amdhsa_user_sgpr_count 15
		.amdhsa_user_sgpr_dispatch_ptr 0
		.amdhsa_user_sgpr_queue_ptr 0
		.amdhsa_user_sgpr_kernarg_segment_ptr 1
		.amdhsa_user_sgpr_dispatch_id 0
		.amdhsa_user_sgpr_private_segment_size 0
		.amdhsa_wavefront_size32 1
		.amdhsa_uses_dynamic_stack 0
		.amdhsa_enable_private_segment 0
		.amdhsa_system_sgpr_workgroup_id_x 1
		.amdhsa_system_sgpr_workgroup_id_y 0
		.amdhsa_system_sgpr_workgroup_id_z 0
		.amdhsa_system_sgpr_workgroup_info 0
		.amdhsa_system_vgpr_workitem_id 0
		.amdhsa_next_free_vgpr 6
		.amdhsa_next_free_sgpr 16
		.amdhsa_reserve_vcc 1
		.amdhsa_float_round_mode_32 0
		.amdhsa_float_round_mode_16_64 0
		.amdhsa_float_denorm_mode_32 3
		.amdhsa_float_denorm_mode_16_64 3
		.amdhsa_dx10_clamp 1
		.amdhsa_ieee_mode 1
		.amdhsa_fp16_overflow 0
		.amdhsa_workgroup_processor_mode 1
		.amdhsa_memory_ordered 1
		.amdhsa_forward_progress 0
		.amdhsa_shared_vgpr_count 0
		.amdhsa_exception_fp_ieee_invalid_op 0
		.amdhsa_exception_fp_denorm_src 0
		.amdhsa_exception_fp_ieee_div_zero 0
		.amdhsa_exception_fp_ieee_overflow 0
		.amdhsa_exception_fp_ieee_underflow 0
		.amdhsa_exception_fp_ieee_inexact 0
		.amdhsa_exception_int_div_zero 0
	.end_amdhsa_kernel
	.section	.text._Z24warp_reduce_valid_kernelIfLj64ELj2EENSt9enable_ifIXsr10test_utilsE35device_test_enabled_for_warp_size_vIXT1_EEEvE4typeEPT_S4_i,"axG",@progbits,_Z24warp_reduce_valid_kernelIfLj64ELj2EENSt9enable_ifIXsr10test_utilsE35device_test_enabled_for_warp_size_vIXT1_EEEvE4typeEPT_S4_i,comdat
.Lfunc_end114:
	.size	_Z24warp_reduce_valid_kernelIfLj64ELj2EENSt9enable_ifIXsr10test_utilsE35device_test_enabled_for_warp_size_vIXT1_EEEvE4typeEPT_S4_i, .Lfunc_end114-_Z24warp_reduce_valid_kernelIfLj64ELj2EENSt9enable_ifIXsr10test_utilsE35device_test_enabled_for_warp_size_vIXT1_EEEvE4typeEPT_S4_i
                                        ; -- End function
	.section	.AMDGPU.csdata,"",@progbits
; Kernel info:
; codeLenInByte = 212
; NumSgprs: 18
; NumVgprs: 6
; ScratchSize: 0
; MemoryBound: 0
; FloatMode: 240
; IeeeMode: 1
; LDSByteSize: 0 bytes/workgroup (compile time only)
; SGPRBlocks: 2
; VGPRBlocks: 0
; NumSGPRsForWavesPerEU: 18
; NumVGPRsForWavesPerEU: 6
; Occupancy: 16
; WaveLimiterHint : 0
; COMPUTE_PGM_RSRC2:SCRATCH_EN: 0
; COMPUTE_PGM_RSRC2:USER_SGPR: 15
; COMPUTE_PGM_RSRC2:TRAP_HANDLER: 0
; COMPUTE_PGM_RSRC2:TGID_X_EN: 1
; COMPUTE_PGM_RSRC2:TGID_Y_EN: 0
; COMPUTE_PGM_RSRC2:TGID_Z_EN: 0
; COMPUTE_PGM_RSRC2:TIDIG_COMP_CNT: 0
	.section	.text._Z24warp_reduce_valid_kernelIfLj32ELj1EENSt9enable_ifIXsr10test_utilsE35device_test_enabled_for_warp_size_vIXT1_EEEvE4typeEPT_S4_i,"axG",@progbits,_Z24warp_reduce_valid_kernelIfLj32ELj1EENSt9enable_ifIXsr10test_utilsE35device_test_enabled_for_warp_size_vIXT1_EEEvE4typeEPT_S4_i,comdat
	.protected	_Z24warp_reduce_valid_kernelIfLj32ELj1EENSt9enable_ifIXsr10test_utilsE35device_test_enabled_for_warp_size_vIXT1_EEEvE4typeEPT_S4_i ; -- Begin function _Z24warp_reduce_valid_kernelIfLj32ELj1EENSt9enable_ifIXsr10test_utilsE35device_test_enabled_for_warp_size_vIXT1_EEEvE4typeEPT_S4_i
	.globl	_Z24warp_reduce_valid_kernelIfLj32ELj1EENSt9enable_ifIXsr10test_utilsE35device_test_enabled_for_warp_size_vIXT1_EEEvE4typeEPT_S4_i
	.p2align	8
	.type	_Z24warp_reduce_valid_kernelIfLj32ELj1EENSt9enable_ifIXsr10test_utilsE35device_test_enabled_for_warp_size_vIXT1_EEEvE4typeEPT_S4_i,@function
_Z24warp_reduce_valid_kernelIfLj32ELj1EENSt9enable_ifIXsr10test_utilsE35device_test_enabled_for_warp_size_vIXT1_EEEvE4typeEPT_S4_i: ; @_Z24warp_reduce_valid_kernelIfLj32ELj1EENSt9enable_ifIXsr10test_utilsE35device_test_enabled_for_warp_size_vIXT1_EEEvE4typeEPT_S4_i
; %bb.0:
	s_clause 0x1
	s_load_b32 s4, s[0:1], 0x24
	s_load_b128 s[0:3], s[0:1], 0x0
	s_waitcnt lgkmcnt(0)
	s_and_b32 s4, s4, 0xffff
	s_delay_alu instid0(SALU_CYCLE_1) | instskip(SKIP_1) | instid1(VALU_DEP_1)
	v_mad_u64_u32 v[1:2], null, s15, s4, v[0:1]
	v_mov_b32_e32 v2, 0
	v_lshlrev_b64 v[0:1], 2, v[1:2]
	s_delay_alu instid0(VALU_DEP_1) | instskip(NEXT) | instid1(VALU_DEP_2)
	v_add_co_u32 v2, vcc_lo, s0, v0
	v_add_co_ci_u32_e32 v3, vcc_lo, s1, v1, vcc_lo
	v_add_co_u32 v0, vcc_lo, s2, v0
	v_add_co_ci_u32_e32 v1, vcc_lo, s3, v1, vcc_lo
	global_load_b32 v2, v[2:3], off
	s_waitcnt vmcnt(0)
	global_store_b32 v[0:1], v2, off
	s_nop 0
	s_sendmsg sendmsg(MSG_DEALLOC_VGPRS)
	s_endpgm
	.section	.rodata,"a",@progbits
	.p2align	6, 0x0
	.amdhsa_kernel _Z24warp_reduce_valid_kernelIfLj32ELj1EENSt9enable_ifIXsr10test_utilsE35device_test_enabled_for_warp_size_vIXT1_EEEvE4typeEPT_S4_i
		.amdhsa_group_segment_fixed_size 0
		.amdhsa_private_segment_fixed_size 0
		.amdhsa_kernarg_size 280
		.amdhsa_user_sgpr_count 15
		.amdhsa_user_sgpr_dispatch_ptr 0
		.amdhsa_user_sgpr_queue_ptr 0
		.amdhsa_user_sgpr_kernarg_segment_ptr 1
		.amdhsa_user_sgpr_dispatch_id 0
		.amdhsa_user_sgpr_private_segment_size 0
		.amdhsa_wavefront_size32 1
		.amdhsa_uses_dynamic_stack 0
		.amdhsa_enable_private_segment 0
		.amdhsa_system_sgpr_workgroup_id_x 1
		.amdhsa_system_sgpr_workgroup_id_y 0
		.amdhsa_system_sgpr_workgroup_id_z 0
		.amdhsa_system_sgpr_workgroup_info 0
		.amdhsa_system_vgpr_workitem_id 0
		.amdhsa_next_free_vgpr 4
		.amdhsa_next_free_sgpr 16
		.amdhsa_reserve_vcc 1
		.amdhsa_float_round_mode_32 0
		.amdhsa_float_round_mode_16_64 0
		.amdhsa_float_denorm_mode_32 3
		.amdhsa_float_denorm_mode_16_64 3
		.amdhsa_dx10_clamp 1
		.amdhsa_ieee_mode 1
		.amdhsa_fp16_overflow 0
		.amdhsa_workgroup_processor_mode 1
		.amdhsa_memory_ordered 1
		.amdhsa_forward_progress 0
		.amdhsa_shared_vgpr_count 0
		.amdhsa_exception_fp_ieee_invalid_op 0
		.amdhsa_exception_fp_denorm_src 0
		.amdhsa_exception_fp_ieee_div_zero 0
		.amdhsa_exception_fp_ieee_overflow 0
		.amdhsa_exception_fp_ieee_underflow 0
		.amdhsa_exception_fp_ieee_inexact 0
		.amdhsa_exception_int_div_zero 0
	.end_amdhsa_kernel
	.section	.text._Z24warp_reduce_valid_kernelIfLj32ELj1EENSt9enable_ifIXsr10test_utilsE35device_test_enabled_for_warp_size_vIXT1_EEEvE4typeEPT_S4_i,"axG",@progbits,_Z24warp_reduce_valid_kernelIfLj32ELj1EENSt9enable_ifIXsr10test_utilsE35device_test_enabled_for_warp_size_vIXT1_EEEvE4typeEPT_S4_i,comdat
.Lfunc_end115:
	.size	_Z24warp_reduce_valid_kernelIfLj32ELj1EENSt9enable_ifIXsr10test_utilsE35device_test_enabled_for_warp_size_vIXT1_EEEvE4typeEPT_S4_i, .Lfunc_end115-_Z24warp_reduce_valid_kernelIfLj32ELj1EENSt9enable_ifIXsr10test_utilsE35device_test_enabled_for_warp_size_vIXT1_EEEvE4typeEPT_S4_i
                                        ; -- End function
	.section	.AMDGPU.csdata,"",@progbits
; Kernel info:
; codeLenInByte = 116
; NumSgprs: 18
; NumVgprs: 4
; ScratchSize: 0
; MemoryBound: 0
; FloatMode: 240
; IeeeMode: 1
; LDSByteSize: 0 bytes/workgroup (compile time only)
; SGPRBlocks: 2
; VGPRBlocks: 0
; NumSGPRsForWavesPerEU: 18
; NumVGPRsForWavesPerEU: 4
; Occupancy: 16
; WaveLimiterHint : 0
; COMPUTE_PGM_RSRC2:SCRATCH_EN: 0
; COMPUTE_PGM_RSRC2:USER_SGPR: 15
; COMPUTE_PGM_RSRC2:TRAP_HANDLER: 0
; COMPUTE_PGM_RSRC2:TGID_X_EN: 1
; COMPUTE_PGM_RSRC2:TGID_Y_EN: 0
; COMPUTE_PGM_RSRC2:TGID_Z_EN: 0
; COMPUTE_PGM_RSRC2:TIDIG_COMP_CNT: 0
	.section	.text._Z24warp_reduce_valid_kernelIfLj64ELj1EENSt9enable_ifIXsr10test_utilsE35device_test_enabled_for_warp_size_vIXT1_EEEvE4typeEPT_S4_i,"axG",@progbits,_Z24warp_reduce_valid_kernelIfLj64ELj1EENSt9enable_ifIXsr10test_utilsE35device_test_enabled_for_warp_size_vIXT1_EEEvE4typeEPT_S4_i,comdat
	.protected	_Z24warp_reduce_valid_kernelIfLj64ELj1EENSt9enable_ifIXsr10test_utilsE35device_test_enabled_for_warp_size_vIXT1_EEEvE4typeEPT_S4_i ; -- Begin function _Z24warp_reduce_valid_kernelIfLj64ELj1EENSt9enable_ifIXsr10test_utilsE35device_test_enabled_for_warp_size_vIXT1_EEEvE4typeEPT_S4_i
	.globl	_Z24warp_reduce_valid_kernelIfLj64ELj1EENSt9enable_ifIXsr10test_utilsE35device_test_enabled_for_warp_size_vIXT1_EEEvE4typeEPT_S4_i
	.p2align	8
	.type	_Z24warp_reduce_valid_kernelIfLj64ELj1EENSt9enable_ifIXsr10test_utilsE35device_test_enabled_for_warp_size_vIXT1_EEEvE4typeEPT_S4_i,@function
_Z24warp_reduce_valid_kernelIfLj64ELj1EENSt9enable_ifIXsr10test_utilsE35device_test_enabled_for_warp_size_vIXT1_EEEvE4typeEPT_S4_i: ; @_Z24warp_reduce_valid_kernelIfLj64ELj1EENSt9enable_ifIXsr10test_utilsE35device_test_enabled_for_warp_size_vIXT1_EEEvE4typeEPT_S4_i
; %bb.0:
	s_clause 0x1
	s_load_b32 s4, s[0:1], 0x24
	s_load_b128 s[0:3], s[0:1], 0x0
	s_waitcnt lgkmcnt(0)
	s_and_b32 s4, s4, 0xffff
	s_delay_alu instid0(SALU_CYCLE_1) | instskip(SKIP_1) | instid1(VALU_DEP_1)
	v_mad_u64_u32 v[1:2], null, s15, s4, v[0:1]
	v_mov_b32_e32 v2, 0
	v_lshlrev_b64 v[0:1], 2, v[1:2]
	s_delay_alu instid0(VALU_DEP_1) | instskip(NEXT) | instid1(VALU_DEP_2)
	v_add_co_u32 v2, vcc_lo, s0, v0
	v_add_co_ci_u32_e32 v3, vcc_lo, s1, v1, vcc_lo
	v_add_co_u32 v0, vcc_lo, s2, v0
	v_add_co_ci_u32_e32 v1, vcc_lo, s3, v1, vcc_lo
	global_load_b32 v2, v[2:3], off
	s_waitcnt vmcnt(0)
	global_store_b32 v[0:1], v2, off
	s_nop 0
	s_sendmsg sendmsg(MSG_DEALLOC_VGPRS)
	s_endpgm
	.section	.rodata,"a",@progbits
	.p2align	6, 0x0
	.amdhsa_kernel _Z24warp_reduce_valid_kernelIfLj64ELj1EENSt9enable_ifIXsr10test_utilsE35device_test_enabled_for_warp_size_vIXT1_EEEvE4typeEPT_S4_i
		.amdhsa_group_segment_fixed_size 0
		.amdhsa_private_segment_fixed_size 0
		.amdhsa_kernarg_size 280
		.amdhsa_user_sgpr_count 15
		.amdhsa_user_sgpr_dispatch_ptr 0
		.amdhsa_user_sgpr_queue_ptr 0
		.amdhsa_user_sgpr_kernarg_segment_ptr 1
		.amdhsa_user_sgpr_dispatch_id 0
		.amdhsa_user_sgpr_private_segment_size 0
		.amdhsa_wavefront_size32 1
		.amdhsa_uses_dynamic_stack 0
		.amdhsa_enable_private_segment 0
		.amdhsa_system_sgpr_workgroup_id_x 1
		.amdhsa_system_sgpr_workgroup_id_y 0
		.amdhsa_system_sgpr_workgroup_id_z 0
		.amdhsa_system_sgpr_workgroup_info 0
		.amdhsa_system_vgpr_workitem_id 0
		.amdhsa_next_free_vgpr 4
		.amdhsa_next_free_sgpr 16
		.amdhsa_reserve_vcc 1
		.amdhsa_float_round_mode_32 0
		.amdhsa_float_round_mode_16_64 0
		.amdhsa_float_denorm_mode_32 3
		.amdhsa_float_denorm_mode_16_64 3
		.amdhsa_dx10_clamp 1
		.amdhsa_ieee_mode 1
		.amdhsa_fp16_overflow 0
		.amdhsa_workgroup_processor_mode 1
		.amdhsa_memory_ordered 1
		.amdhsa_forward_progress 0
		.amdhsa_shared_vgpr_count 0
		.amdhsa_exception_fp_ieee_invalid_op 0
		.amdhsa_exception_fp_denorm_src 0
		.amdhsa_exception_fp_ieee_div_zero 0
		.amdhsa_exception_fp_ieee_overflow 0
		.amdhsa_exception_fp_ieee_underflow 0
		.amdhsa_exception_fp_ieee_inexact 0
		.amdhsa_exception_int_div_zero 0
	.end_amdhsa_kernel
	.section	.text._Z24warp_reduce_valid_kernelIfLj64ELj1EENSt9enable_ifIXsr10test_utilsE35device_test_enabled_for_warp_size_vIXT1_EEEvE4typeEPT_S4_i,"axG",@progbits,_Z24warp_reduce_valid_kernelIfLj64ELj1EENSt9enable_ifIXsr10test_utilsE35device_test_enabled_for_warp_size_vIXT1_EEEvE4typeEPT_S4_i,comdat
.Lfunc_end116:
	.size	_Z24warp_reduce_valid_kernelIfLj64ELj1EENSt9enable_ifIXsr10test_utilsE35device_test_enabled_for_warp_size_vIXT1_EEEvE4typeEPT_S4_i, .Lfunc_end116-_Z24warp_reduce_valid_kernelIfLj64ELj1EENSt9enable_ifIXsr10test_utilsE35device_test_enabled_for_warp_size_vIXT1_EEEvE4typeEPT_S4_i
                                        ; -- End function
	.section	.AMDGPU.csdata,"",@progbits
; Kernel info:
; codeLenInByte = 116
; NumSgprs: 18
; NumVgprs: 4
; ScratchSize: 0
; MemoryBound: 0
; FloatMode: 240
; IeeeMode: 1
; LDSByteSize: 0 bytes/workgroup (compile time only)
; SGPRBlocks: 2
; VGPRBlocks: 0
; NumSGPRsForWavesPerEU: 18
; NumVGPRsForWavesPerEU: 4
; Occupancy: 16
; WaveLimiterHint : 0
; COMPUTE_PGM_RSRC2:SCRATCH_EN: 0
; COMPUTE_PGM_RSRC2:USER_SGPR: 15
; COMPUTE_PGM_RSRC2:TRAP_HANDLER: 0
; COMPUTE_PGM_RSRC2:TGID_X_EN: 1
; COMPUTE_PGM_RSRC2:TGID_Y_EN: 0
; COMPUTE_PGM_RSRC2:TGID_Z_EN: 0
; COMPUTE_PGM_RSRC2:TIDIG_COMP_CNT: 0
	.section	.text._Z24warp_reduce_valid_kernelIiLj256ELj64EENSt9enable_ifIXntsr10test_utilsE35device_test_enabled_for_warp_size_vIXT1_EEEvE4typeEPT_S4_i,"axG",@progbits,_Z24warp_reduce_valid_kernelIiLj256ELj64EENSt9enable_ifIXntsr10test_utilsE35device_test_enabled_for_warp_size_vIXT1_EEEvE4typeEPT_S4_i,comdat
	.protected	_Z24warp_reduce_valid_kernelIiLj256ELj64EENSt9enable_ifIXntsr10test_utilsE35device_test_enabled_for_warp_size_vIXT1_EEEvE4typeEPT_S4_i ; -- Begin function _Z24warp_reduce_valid_kernelIiLj256ELj64EENSt9enable_ifIXntsr10test_utilsE35device_test_enabled_for_warp_size_vIXT1_EEEvE4typeEPT_S4_i
	.globl	_Z24warp_reduce_valid_kernelIiLj256ELj64EENSt9enable_ifIXntsr10test_utilsE35device_test_enabled_for_warp_size_vIXT1_EEEvE4typeEPT_S4_i
	.p2align	8
	.type	_Z24warp_reduce_valid_kernelIiLj256ELj64EENSt9enable_ifIXntsr10test_utilsE35device_test_enabled_for_warp_size_vIXT1_EEEvE4typeEPT_S4_i,@function
_Z24warp_reduce_valid_kernelIiLj256ELj64EENSt9enable_ifIXntsr10test_utilsE35device_test_enabled_for_warp_size_vIXT1_EEEvE4typeEPT_S4_i: ; @_Z24warp_reduce_valid_kernelIiLj256ELj64EENSt9enable_ifIXntsr10test_utilsE35device_test_enabled_for_warp_size_vIXT1_EEEvE4typeEPT_S4_i
; %bb.0:
	s_endpgm
	.section	.rodata,"a",@progbits
	.p2align	6, 0x0
	.amdhsa_kernel _Z24warp_reduce_valid_kernelIiLj256ELj64EENSt9enable_ifIXntsr10test_utilsE35device_test_enabled_for_warp_size_vIXT1_EEEvE4typeEPT_S4_i
		.amdhsa_group_segment_fixed_size 0
		.amdhsa_private_segment_fixed_size 0
		.amdhsa_kernarg_size 20
		.amdhsa_user_sgpr_count 15
		.amdhsa_user_sgpr_dispatch_ptr 0
		.amdhsa_user_sgpr_queue_ptr 0
		.amdhsa_user_sgpr_kernarg_segment_ptr 1
		.amdhsa_user_sgpr_dispatch_id 0
		.amdhsa_user_sgpr_private_segment_size 0
		.amdhsa_wavefront_size32 1
		.amdhsa_uses_dynamic_stack 0
		.amdhsa_enable_private_segment 0
		.amdhsa_system_sgpr_workgroup_id_x 1
		.amdhsa_system_sgpr_workgroup_id_y 0
		.amdhsa_system_sgpr_workgroup_id_z 0
		.amdhsa_system_sgpr_workgroup_info 0
		.amdhsa_system_vgpr_workitem_id 0
		.amdhsa_next_free_vgpr 1
		.amdhsa_next_free_sgpr 1
		.amdhsa_reserve_vcc 0
		.amdhsa_float_round_mode_32 0
		.amdhsa_float_round_mode_16_64 0
		.amdhsa_float_denorm_mode_32 3
		.amdhsa_float_denorm_mode_16_64 3
		.amdhsa_dx10_clamp 1
		.amdhsa_ieee_mode 1
		.amdhsa_fp16_overflow 0
		.amdhsa_workgroup_processor_mode 1
		.amdhsa_memory_ordered 1
		.amdhsa_forward_progress 0
		.amdhsa_shared_vgpr_count 0
		.amdhsa_exception_fp_ieee_invalid_op 0
		.amdhsa_exception_fp_denorm_src 0
		.amdhsa_exception_fp_ieee_div_zero 0
		.amdhsa_exception_fp_ieee_overflow 0
		.amdhsa_exception_fp_ieee_underflow 0
		.amdhsa_exception_fp_ieee_inexact 0
		.amdhsa_exception_int_div_zero 0
	.end_amdhsa_kernel
	.section	.text._Z24warp_reduce_valid_kernelIiLj256ELj64EENSt9enable_ifIXntsr10test_utilsE35device_test_enabled_for_warp_size_vIXT1_EEEvE4typeEPT_S4_i,"axG",@progbits,_Z24warp_reduce_valid_kernelIiLj256ELj64EENSt9enable_ifIXntsr10test_utilsE35device_test_enabled_for_warp_size_vIXT1_EEEvE4typeEPT_S4_i,comdat
.Lfunc_end117:
	.size	_Z24warp_reduce_valid_kernelIiLj256ELj64EENSt9enable_ifIXntsr10test_utilsE35device_test_enabled_for_warp_size_vIXT1_EEEvE4typeEPT_S4_i, .Lfunc_end117-_Z24warp_reduce_valid_kernelIiLj256ELj64EENSt9enable_ifIXntsr10test_utilsE35device_test_enabled_for_warp_size_vIXT1_EEEvE4typeEPT_S4_i
                                        ; -- End function
	.section	.AMDGPU.csdata,"",@progbits
; Kernel info:
; codeLenInByte = 4
; NumSgprs: 0
; NumVgprs: 0
; ScratchSize: 0
; MemoryBound: 0
; FloatMode: 240
; IeeeMode: 1
; LDSByteSize: 0 bytes/workgroup (compile time only)
; SGPRBlocks: 0
; VGPRBlocks: 0
; NumSGPRsForWavesPerEU: 1
; NumVGPRsForWavesPerEU: 1
; Occupancy: 16
; WaveLimiterHint : 0
; COMPUTE_PGM_RSRC2:SCRATCH_EN: 0
; COMPUTE_PGM_RSRC2:USER_SGPR: 15
; COMPUTE_PGM_RSRC2:TRAP_HANDLER: 0
; COMPUTE_PGM_RSRC2:TGID_X_EN: 1
; COMPUTE_PGM_RSRC2:TGID_Y_EN: 0
; COMPUTE_PGM_RSRC2:TGID_Z_EN: 0
; COMPUTE_PGM_RSRC2:TIDIG_COMP_CNT: 0
	.section	.text._Z24warp_reduce_valid_kernelIiLj128ELj32EENSt9enable_ifIXsr10test_utilsE35device_test_enabled_for_warp_size_vIXT1_EEEvE4typeEPT_S4_i,"axG",@progbits,_Z24warp_reduce_valid_kernelIiLj128ELj32EENSt9enable_ifIXsr10test_utilsE35device_test_enabled_for_warp_size_vIXT1_EEEvE4typeEPT_S4_i,comdat
	.protected	_Z24warp_reduce_valid_kernelIiLj128ELj32EENSt9enable_ifIXsr10test_utilsE35device_test_enabled_for_warp_size_vIXT1_EEEvE4typeEPT_S4_i ; -- Begin function _Z24warp_reduce_valid_kernelIiLj128ELj32EENSt9enable_ifIXsr10test_utilsE35device_test_enabled_for_warp_size_vIXT1_EEEvE4typeEPT_S4_i
	.globl	_Z24warp_reduce_valid_kernelIiLj128ELj32EENSt9enable_ifIXsr10test_utilsE35device_test_enabled_for_warp_size_vIXT1_EEEvE4typeEPT_S4_i
	.p2align	8
	.type	_Z24warp_reduce_valid_kernelIiLj128ELj32EENSt9enable_ifIXsr10test_utilsE35device_test_enabled_for_warp_size_vIXT1_EEEvE4typeEPT_S4_i,@function
_Z24warp_reduce_valid_kernelIiLj128ELj32EENSt9enable_ifIXsr10test_utilsE35device_test_enabled_for_warp_size_vIXT1_EEEvE4typeEPT_S4_i: ; @_Z24warp_reduce_valid_kernelIiLj128ELj32EENSt9enable_ifIXsr10test_utilsE35device_test_enabled_for_warp_size_vIXT1_EEEvE4typeEPT_S4_i
; %bb.0:
	s_clause 0x2
	s_load_b32 s2, s[0:1], 0x24
	s_load_b128 s[4:7], s[0:1], 0x0
	s_load_b32 s0, s[0:1], 0x10
	s_mov_b32 s1, exec_lo
	s_waitcnt lgkmcnt(0)
	s_and_b32 s2, s2, 0xffff
	s_delay_alu instid0(SALU_CYCLE_1) | instskip(SKIP_2) | instid1(VALU_DEP_2)
	v_mad_u64_u32 v[1:2], null, s15, s2, v[0:1]
	v_mov_b32_e32 v2, 0
	v_and_b32_e32 v0, 31, v0
	v_lshlrev_b64 v[2:3], 2, v[1:2]
	s_delay_alu instid0(VALU_DEP_1) | instskip(NEXT) | instid1(VALU_DEP_2)
	v_add_co_u32 v2, vcc_lo, s4, v2
	v_add_co_ci_u32_e32 v3, vcc_lo, s5, v3, vcc_lo
	global_load_b32 v3, v[2:3], off
	v_mbcnt_lo_u32_b32 v2, -1, 0
	s_delay_alu instid0(VALU_DEP_1) | instskip(SKIP_3) | instid1(VALU_DEP_2)
	v_cmp_ne_u32_e32 vcc_lo, 31, v2
	v_add_nc_u32_e32 v6, 1, v2
	v_add_co_ci_u32_e32 v4, vcc_lo, 0, v2, vcc_lo
	v_cmp_gt_u32_e32 vcc_lo, 30, v2
	v_lshlrev_b32_e32 v4, 2, v4
	v_cndmask_b32_e64 v5, 0, 1, vcc_lo
	v_cmp_gt_u32_e32 vcc_lo, s0, v6
	v_add_nc_u32_e32 v6, 2, v2
	s_delay_alu instid0(VALU_DEP_3) | instskip(NEXT) | instid1(VALU_DEP_1)
	v_lshlrev_b32_e32 v5, 1, v5
	v_add_lshl_u32 v5, v5, v2, 2
	s_waitcnt vmcnt(0)
	ds_bpermute_b32 v4, v4, v3
	s_waitcnt lgkmcnt(0)
	v_cndmask_b32_e32 v4, 0, v4, vcc_lo
	v_cmp_gt_u32_e32 vcc_lo, 28, v2
	s_delay_alu instid0(VALU_DEP_2) | instskip(SKIP_4) | instid1(VALU_DEP_3)
	v_add_nc_u32_e32 v3, v4, v3
	ds_bpermute_b32 v4, v5, v3
	v_cndmask_b32_e64 v5, 0, 1, vcc_lo
	v_cmp_gt_u32_e32 vcc_lo, s0, v6
	v_add_nc_u32_e32 v6, 4, v2
	v_lshlrev_b32_e32 v5, 2, v5
	s_delay_alu instid0(VALU_DEP_1) | instskip(SKIP_3) | instid1(VALU_DEP_2)
	v_add_lshl_u32 v5, v5, v2, 2
	s_waitcnt lgkmcnt(0)
	v_cndmask_b32_e32 v4, 0, v4, vcc_lo
	v_cmp_gt_u32_e32 vcc_lo, 24, v2
	v_add_nc_u32_e32 v3, v3, v4
	ds_bpermute_b32 v4, v5, v3
	v_cndmask_b32_e64 v5, 0, 1, vcc_lo
	v_cmp_gt_u32_e32 vcc_lo, s0, v6
	s_waitcnt lgkmcnt(0)
	s_delay_alu instid0(VALU_DEP_2) | instskip(NEXT) | instid1(VALU_DEP_1)
	v_dual_cndmask_b32 v4, 0, v4 :: v_dual_lshlrev_b32 v5, 3, v5
	v_add_lshl_u32 v5, v5, v2, 2
	v_cmp_gt_u32_e32 vcc_lo, 16, v2
	s_delay_alu instid0(VALU_DEP_3) | instskip(SKIP_3) | instid1(VALU_DEP_1)
	v_add_nc_u32_e32 v3, v3, v4
	v_cndmask_b32_e64 v6, 0, 1, vcc_lo
	ds_bpermute_b32 v4, v5, v3
	v_add_nc_u32_e32 v5, 8, v2
	v_cmp_gt_u32_e32 vcc_lo, s0, v5
	s_waitcnt lgkmcnt(0)
	v_dual_cndmask_b32 v4, 0, v4 :: v_dual_lshlrev_b32 v5, 4, v6
	s_delay_alu instid0(VALU_DEP_1) | instskip(NEXT) | instid1(VALU_DEP_2)
	v_add_nc_u32_e32 v3, v3, v4
	v_add_lshl_u32 v4, v5, v2, 2
	ds_bpermute_b32 v4, v4, v3
	v_cmpx_eq_u32_e32 0, v0
	s_cbranch_execz .LBB118_2
; %bb.1:
	v_add_nc_u32_e32 v0, 16, v2
	v_lshrrev_b32_e32 v1, 3, v1
	s_delay_alu instid0(VALU_DEP_2) | instskip(SKIP_1) | instid1(VALU_DEP_2)
	v_cmp_gt_u32_e32 vcc_lo, s0, v0
	s_waitcnt lgkmcnt(0)
	v_dual_cndmask_b32 v0, 0, v4 :: v_dual_and_b32 v1, 0x1ffffffc, v1
	s_delay_alu instid0(VALU_DEP_1)
	v_add_nc_u32_e32 v0, v3, v0
	global_store_b32 v1, v0, s[6:7]
.LBB118_2:
	s_nop 0
	s_sendmsg sendmsg(MSG_DEALLOC_VGPRS)
	s_endpgm
	.section	.rodata,"a",@progbits
	.p2align	6, 0x0
	.amdhsa_kernel _Z24warp_reduce_valid_kernelIiLj128ELj32EENSt9enable_ifIXsr10test_utilsE35device_test_enabled_for_warp_size_vIXT1_EEEvE4typeEPT_S4_i
		.amdhsa_group_segment_fixed_size 0
		.amdhsa_private_segment_fixed_size 0
		.amdhsa_kernarg_size 280
		.amdhsa_user_sgpr_count 15
		.amdhsa_user_sgpr_dispatch_ptr 0
		.amdhsa_user_sgpr_queue_ptr 0
		.amdhsa_user_sgpr_kernarg_segment_ptr 1
		.amdhsa_user_sgpr_dispatch_id 0
		.amdhsa_user_sgpr_private_segment_size 0
		.amdhsa_wavefront_size32 1
		.amdhsa_uses_dynamic_stack 0
		.amdhsa_enable_private_segment 0
		.amdhsa_system_sgpr_workgroup_id_x 1
		.amdhsa_system_sgpr_workgroup_id_y 0
		.amdhsa_system_sgpr_workgroup_id_z 0
		.amdhsa_system_sgpr_workgroup_info 0
		.amdhsa_system_vgpr_workitem_id 0
		.amdhsa_next_free_vgpr 7
		.amdhsa_next_free_sgpr 16
		.amdhsa_reserve_vcc 1
		.amdhsa_float_round_mode_32 0
		.amdhsa_float_round_mode_16_64 0
		.amdhsa_float_denorm_mode_32 3
		.amdhsa_float_denorm_mode_16_64 3
		.amdhsa_dx10_clamp 1
		.amdhsa_ieee_mode 1
		.amdhsa_fp16_overflow 0
		.amdhsa_workgroup_processor_mode 1
		.amdhsa_memory_ordered 1
		.amdhsa_forward_progress 0
		.amdhsa_shared_vgpr_count 0
		.amdhsa_exception_fp_ieee_invalid_op 0
		.amdhsa_exception_fp_denorm_src 0
		.amdhsa_exception_fp_ieee_div_zero 0
		.amdhsa_exception_fp_ieee_overflow 0
		.amdhsa_exception_fp_ieee_underflow 0
		.amdhsa_exception_fp_ieee_inexact 0
		.amdhsa_exception_int_div_zero 0
	.end_amdhsa_kernel
	.section	.text._Z24warp_reduce_valid_kernelIiLj128ELj32EENSt9enable_ifIXsr10test_utilsE35device_test_enabled_for_warp_size_vIXT1_EEEvE4typeEPT_S4_i,"axG",@progbits,_Z24warp_reduce_valid_kernelIiLj128ELj32EENSt9enable_ifIXsr10test_utilsE35device_test_enabled_for_warp_size_vIXT1_EEEvE4typeEPT_S4_i,comdat
.Lfunc_end118:
	.size	_Z24warp_reduce_valid_kernelIiLj128ELj32EENSt9enable_ifIXsr10test_utilsE35device_test_enabled_for_warp_size_vIXT1_EEEvE4typeEPT_S4_i, .Lfunc_end118-_Z24warp_reduce_valid_kernelIiLj128ELj32EENSt9enable_ifIXsr10test_utilsE35device_test_enabled_for_warp_size_vIXT1_EEEvE4typeEPT_S4_i
                                        ; -- End function
	.section	.AMDGPU.csdata,"",@progbits
; Kernel info:
; codeLenInByte = 432
; NumSgprs: 18
; NumVgprs: 7
; ScratchSize: 0
; MemoryBound: 0
; FloatMode: 240
; IeeeMode: 1
; LDSByteSize: 0 bytes/workgroup (compile time only)
; SGPRBlocks: 2
; VGPRBlocks: 0
; NumSGPRsForWavesPerEU: 18
; NumVGPRsForWavesPerEU: 7
; Occupancy: 16
; WaveLimiterHint : 0
; COMPUTE_PGM_RSRC2:SCRATCH_EN: 0
; COMPUTE_PGM_RSRC2:USER_SGPR: 15
; COMPUTE_PGM_RSRC2:TRAP_HANDLER: 0
; COMPUTE_PGM_RSRC2:TGID_X_EN: 1
; COMPUTE_PGM_RSRC2:TGID_Y_EN: 0
; COMPUTE_PGM_RSRC2:TGID_Z_EN: 0
; COMPUTE_PGM_RSRC2:TIDIG_COMP_CNT: 0
	.section	.text._Z24warp_reduce_valid_kernelIiLj64ELj16EENSt9enable_ifIXsr10test_utilsE35device_test_enabled_for_warp_size_vIXT1_EEEvE4typeEPT_S4_i,"axG",@progbits,_Z24warp_reduce_valid_kernelIiLj64ELj16EENSt9enable_ifIXsr10test_utilsE35device_test_enabled_for_warp_size_vIXT1_EEEvE4typeEPT_S4_i,comdat
	.protected	_Z24warp_reduce_valid_kernelIiLj64ELj16EENSt9enable_ifIXsr10test_utilsE35device_test_enabled_for_warp_size_vIXT1_EEEvE4typeEPT_S4_i ; -- Begin function _Z24warp_reduce_valid_kernelIiLj64ELj16EENSt9enable_ifIXsr10test_utilsE35device_test_enabled_for_warp_size_vIXT1_EEEvE4typeEPT_S4_i
	.globl	_Z24warp_reduce_valid_kernelIiLj64ELj16EENSt9enable_ifIXsr10test_utilsE35device_test_enabled_for_warp_size_vIXT1_EEEvE4typeEPT_S4_i
	.p2align	8
	.type	_Z24warp_reduce_valid_kernelIiLj64ELj16EENSt9enable_ifIXsr10test_utilsE35device_test_enabled_for_warp_size_vIXT1_EEEvE4typeEPT_S4_i,@function
_Z24warp_reduce_valid_kernelIiLj64ELj16EENSt9enable_ifIXsr10test_utilsE35device_test_enabled_for_warp_size_vIXT1_EEEvE4typeEPT_S4_i: ; @_Z24warp_reduce_valid_kernelIiLj64ELj16EENSt9enable_ifIXsr10test_utilsE35device_test_enabled_for_warp_size_vIXT1_EEEvE4typeEPT_S4_i
; %bb.0:
	s_clause 0x1
	s_load_b32 s2, s[0:1], 0x24
	s_load_b128 s[4:7], s[0:1], 0x0
	v_mbcnt_lo_u32_b32 v4, -1, 0
	s_load_b32 s0, s[0:1], 0x10
	s_mov_b32 s1, exec_lo
	s_waitcnt lgkmcnt(0)
	s_and_b32 s2, s2, 0xffff
	s_delay_alu instid0(SALU_CYCLE_1) | instskip(SKIP_2) | instid1(VALU_DEP_2)
	v_mad_u64_u32 v[1:2], null, s15, s2, v[0:1]
	v_mov_b32_e32 v2, 0
	v_and_b32_e32 v0, 15, v0
	v_lshlrev_b64 v[2:3], 2, v[1:2]
	s_delay_alu instid0(VALU_DEP_1) | instskip(NEXT) | instid1(VALU_DEP_2)
	v_add_co_u32 v2, vcc_lo, s4, v2
	v_add_co_ci_u32_e32 v3, vcc_lo, s5, v3, vcc_lo
	global_load_b32 v3, v[2:3], off
	v_and_b32_e32 v2, 15, v4
	s_delay_alu instid0(VALU_DEP_1) | instskip(SKIP_3) | instid1(VALU_DEP_2)
	v_cmp_ne_u32_e32 vcc_lo, 15, v2
	v_add_nc_u32_e32 v7, 1, v2
	v_add_co_ci_u32_e32 v5, vcc_lo, 0, v4, vcc_lo
	v_cmp_gt_u32_e32 vcc_lo, 14, v2
	v_lshlrev_b32_e32 v5, 2, v5
	v_cndmask_b32_e64 v6, 0, 1, vcc_lo
	v_cmp_gt_u32_e32 vcc_lo, s0, v7
	s_delay_alu instid0(VALU_DEP_2) | instskip(NEXT) | instid1(VALU_DEP_1)
	v_lshlrev_b32_e32 v6, 1, v6
	v_add_lshl_u32 v6, v6, v4, 2
	s_waitcnt vmcnt(0)
	ds_bpermute_b32 v5, v5, v3
	s_waitcnt lgkmcnt(0)
	v_cndmask_b32_e32 v5, 0, v5, vcc_lo
	v_cmp_gt_u32_e32 vcc_lo, 12, v2
	v_add_nc_u32_e32 v7, 2, v2
	s_delay_alu instid0(VALU_DEP_3) | instskip(SKIP_3) | instid1(VALU_DEP_2)
	v_add_nc_u32_e32 v3, v5, v3
	ds_bpermute_b32 v5, v6, v3
	v_cndmask_b32_e64 v6, 0, 1, vcc_lo
	v_cmp_gt_u32_e32 vcc_lo, s0, v7
	v_lshlrev_b32_e32 v6, 2, v6
	s_delay_alu instid0(VALU_DEP_1) | instskip(SKIP_3) | instid1(VALU_DEP_2)
	v_add_lshl_u32 v6, v6, v4, 2
	s_waitcnt lgkmcnt(0)
	v_cndmask_b32_e32 v5, 0, v5, vcc_lo
	v_cmp_gt_u32_e32 vcc_lo, 8, v2
	v_add_nc_u32_e32 v3, v3, v5
	v_cndmask_b32_e64 v7, 0, 1, vcc_lo
	ds_bpermute_b32 v5, v6, v3
	v_add_nc_u32_e32 v6, 4, v2
	s_delay_alu instid0(VALU_DEP_1) | instskip(SKIP_1) | instid1(VALU_DEP_1)
	v_cmp_gt_u32_e32 vcc_lo, s0, v6
	v_lshlrev_b32_e32 v6, 3, v7
	v_add_lshl_u32 v4, v6, v4, 2
	s_waitcnt lgkmcnt(0)
	v_cndmask_b32_e32 v5, 0, v5, vcc_lo
	s_delay_alu instid0(VALU_DEP_1)
	v_add_nc_u32_e32 v3, v3, v5
	ds_bpermute_b32 v4, v4, v3
	v_cmpx_eq_u32_e32 0, v0
	s_cbranch_execz .LBB119_2
; %bb.1:
	v_add_nc_u32_e32 v0, 8, v2
	v_lshrrev_b32_e32 v1, 2, v1
	s_delay_alu instid0(VALU_DEP_2) | instskip(SKIP_1) | instid1(VALU_DEP_2)
	v_cmp_gt_u32_e32 vcc_lo, s0, v0
	s_waitcnt lgkmcnt(0)
	v_dual_cndmask_b32 v0, 0, v4 :: v_dual_and_b32 v1, 0x3ffffffc, v1
	s_delay_alu instid0(VALU_DEP_1)
	v_add_nc_u32_e32 v0, v3, v0
	global_store_b32 v1, v0, s[6:7]
.LBB119_2:
	s_nop 0
	s_sendmsg sendmsg(MSG_DEALLOC_VGPRS)
	s_endpgm
	.section	.rodata,"a",@progbits
	.p2align	6, 0x0
	.amdhsa_kernel _Z24warp_reduce_valid_kernelIiLj64ELj16EENSt9enable_ifIXsr10test_utilsE35device_test_enabled_for_warp_size_vIXT1_EEEvE4typeEPT_S4_i
		.amdhsa_group_segment_fixed_size 0
		.amdhsa_private_segment_fixed_size 0
		.amdhsa_kernarg_size 280
		.amdhsa_user_sgpr_count 15
		.amdhsa_user_sgpr_dispatch_ptr 0
		.amdhsa_user_sgpr_queue_ptr 0
		.amdhsa_user_sgpr_kernarg_segment_ptr 1
		.amdhsa_user_sgpr_dispatch_id 0
		.amdhsa_user_sgpr_private_segment_size 0
		.amdhsa_wavefront_size32 1
		.amdhsa_uses_dynamic_stack 0
		.amdhsa_enable_private_segment 0
		.amdhsa_system_sgpr_workgroup_id_x 1
		.amdhsa_system_sgpr_workgroup_id_y 0
		.amdhsa_system_sgpr_workgroup_id_z 0
		.amdhsa_system_sgpr_workgroup_info 0
		.amdhsa_system_vgpr_workitem_id 0
		.amdhsa_next_free_vgpr 8
		.amdhsa_next_free_sgpr 16
		.amdhsa_reserve_vcc 1
		.amdhsa_float_round_mode_32 0
		.amdhsa_float_round_mode_16_64 0
		.amdhsa_float_denorm_mode_32 3
		.amdhsa_float_denorm_mode_16_64 3
		.amdhsa_dx10_clamp 1
		.amdhsa_ieee_mode 1
		.amdhsa_fp16_overflow 0
		.amdhsa_workgroup_processor_mode 1
		.amdhsa_memory_ordered 1
		.amdhsa_forward_progress 0
		.amdhsa_shared_vgpr_count 0
		.amdhsa_exception_fp_ieee_invalid_op 0
		.amdhsa_exception_fp_denorm_src 0
		.amdhsa_exception_fp_ieee_div_zero 0
		.amdhsa_exception_fp_ieee_overflow 0
		.amdhsa_exception_fp_ieee_underflow 0
		.amdhsa_exception_fp_ieee_inexact 0
		.amdhsa_exception_int_div_zero 0
	.end_amdhsa_kernel
	.section	.text._Z24warp_reduce_valid_kernelIiLj64ELj16EENSt9enable_ifIXsr10test_utilsE35device_test_enabled_for_warp_size_vIXT1_EEEvE4typeEPT_S4_i,"axG",@progbits,_Z24warp_reduce_valid_kernelIiLj64ELj16EENSt9enable_ifIXsr10test_utilsE35device_test_enabled_for_warp_size_vIXT1_EEEvE4typeEPT_S4_i,comdat
.Lfunc_end119:
	.size	_Z24warp_reduce_valid_kernelIiLj64ELj16EENSt9enable_ifIXsr10test_utilsE35device_test_enabled_for_warp_size_vIXT1_EEEvE4typeEPT_S4_i, .Lfunc_end119-_Z24warp_reduce_valid_kernelIiLj64ELj16EENSt9enable_ifIXsr10test_utilsE35device_test_enabled_for_warp_size_vIXT1_EEEvE4typeEPT_S4_i
                                        ; -- End function
	.section	.AMDGPU.csdata,"",@progbits
; Kernel info:
; codeLenInByte = 380
; NumSgprs: 18
; NumVgprs: 8
; ScratchSize: 0
; MemoryBound: 0
; FloatMode: 240
; IeeeMode: 1
; LDSByteSize: 0 bytes/workgroup (compile time only)
; SGPRBlocks: 2
; VGPRBlocks: 0
; NumSGPRsForWavesPerEU: 18
; NumVGPRsForWavesPerEU: 8
; Occupancy: 16
; WaveLimiterHint : 0
; COMPUTE_PGM_RSRC2:SCRATCH_EN: 0
; COMPUTE_PGM_RSRC2:USER_SGPR: 15
; COMPUTE_PGM_RSRC2:TRAP_HANDLER: 0
; COMPUTE_PGM_RSRC2:TGID_X_EN: 1
; COMPUTE_PGM_RSRC2:TGID_Y_EN: 0
; COMPUTE_PGM_RSRC2:TGID_Z_EN: 0
; COMPUTE_PGM_RSRC2:TIDIG_COMP_CNT: 0
	.section	.text._Z24warp_reduce_valid_kernelIiLj32ELj8EENSt9enable_ifIXsr10test_utilsE35device_test_enabled_for_warp_size_vIXT1_EEEvE4typeEPT_S4_i,"axG",@progbits,_Z24warp_reduce_valid_kernelIiLj32ELj8EENSt9enable_ifIXsr10test_utilsE35device_test_enabled_for_warp_size_vIXT1_EEEvE4typeEPT_S4_i,comdat
	.protected	_Z24warp_reduce_valid_kernelIiLj32ELj8EENSt9enable_ifIXsr10test_utilsE35device_test_enabled_for_warp_size_vIXT1_EEEvE4typeEPT_S4_i ; -- Begin function _Z24warp_reduce_valid_kernelIiLj32ELj8EENSt9enable_ifIXsr10test_utilsE35device_test_enabled_for_warp_size_vIXT1_EEEvE4typeEPT_S4_i
	.globl	_Z24warp_reduce_valid_kernelIiLj32ELj8EENSt9enable_ifIXsr10test_utilsE35device_test_enabled_for_warp_size_vIXT1_EEEvE4typeEPT_S4_i
	.p2align	8
	.type	_Z24warp_reduce_valid_kernelIiLj32ELj8EENSt9enable_ifIXsr10test_utilsE35device_test_enabled_for_warp_size_vIXT1_EEEvE4typeEPT_S4_i,@function
_Z24warp_reduce_valid_kernelIiLj32ELj8EENSt9enable_ifIXsr10test_utilsE35device_test_enabled_for_warp_size_vIXT1_EEEvE4typeEPT_S4_i: ; @_Z24warp_reduce_valid_kernelIiLj32ELj8EENSt9enable_ifIXsr10test_utilsE35device_test_enabled_for_warp_size_vIXT1_EEEvE4typeEPT_S4_i
; %bb.0:
	s_clause 0x1
	s_load_b32 s2, s[0:1], 0x24
	s_load_b128 s[4:7], s[0:1], 0x0
	v_mbcnt_lo_u32_b32 v4, -1, 0
	s_load_b32 s0, s[0:1], 0x10
	s_mov_b32 s1, exec_lo
	s_waitcnt lgkmcnt(0)
	s_and_b32 s2, s2, 0xffff
	s_delay_alu instid0(SALU_CYCLE_1) | instskip(SKIP_2) | instid1(VALU_DEP_2)
	v_mad_u64_u32 v[1:2], null, s15, s2, v[0:1]
	v_mov_b32_e32 v2, 0
	v_and_b32_e32 v0, 7, v0
	v_lshlrev_b64 v[2:3], 2, v[1:2]
	s_delay_alu instid0(VALU_DEP_1) | instskip(NEXT) | instid1(VALU_DEP_2)
	v_add_co_u32 v2, vcc_lo, s4, v2
	v_add_co_ci_u32_e32 v3, vcc_lo, s5, v3, vcc_lo
	global_load_b32 v3, v[2:3], off
	v_and_b32_e32 v2, 7, v4
	s_delay_alu instid0(VALU_DEP_1) | instskip(SKIP_3) | instid1(VALU_DEP_2)
	v_cmp_ne_u32_e32 vcc_lo, 7, v2
	v_add_nc_u32_e32 v7, 1, v2
	v_add_co_ci_u32_e32 v5, vcc_lo, 0, v4, vcc_lo
	v_cmp_gt_u32_e32 vcc_lo, 6, v2
	v_lshlrev_b32_e32 v5, 2, v5
	v_cndmask_b32_e64 v6, 0, 1, vcc_lo
	v_cmp_gt_u32_e32 vcc_lo, s0, v7
	s_delay_alu instid0(VALU_DEP_2) | instskip(NEXT) | instid1(VALU_DEP_1)
	v_lshlrev_b32_e32 v6, 1, v6
	v_add_lshl_u32 v6, v6, v4, 2
	s_waitcnt vmcnt(0)
	ds_bpermute_b32 v5, v5, v3
	s_waitcnt lgkmcnt(0)
	v_cndmask_b32_e32 v5, 0, v5, vcc_lo
	v_cmp_gt_u32_e32 vcc_lo, 4, v2
	s_delay_alu instid0(VALU_DEP_2) | instskip(SKIP_3) | instid1(VALU_DEP_1)
	v_add_nc_u32_e32 v3, v5, v3
	v_cndmask_b32_e64 v7, 0, 1, vcc_lo
	ds_bpermute_b32 v5, v6, v3
	v_add_nc_u32_e32 v6, 2, v2
	v_cmp_gt_u32_e32 vcc_lo, s0, v6
	v_lshlrev_b32_e32 v6, 2, v7
	s_delay_alu instid0(VALU_DEP_1) | instskip(SKIP_2) | instid1(VALU_DEP_1)
	v_add_lshl_u32 v4, v6, v4, 2
	s_waitcnt lgkmcnt(0)
	v_cndmask_b32_e32 v5, 0, v5, vcc_lo
	v_add_nc_u32_e32 v3, v3, v5
	ds_bpermute_b32 v4, v4, v3
	v_cmpx_eq_u32_e32 0, v0
	s_cbranch_execz .LBB120_2
; %bb.1:
	v_add_nc_u32_e32 v0, 4, v2
	v_lshrrev_b32_e32 v1, 1, v1
	s_delay_alu instid0(VALU_DEP_2) | instskip(SKIP_1) | instid1(VALU_DEP_2)
	v_cmp_gt_u32_e32 vcc_lo, s0, v0
	s_waitcnt lgkmcnt(0)
	v_dual_cndmask_b32 v0, 0, v4 :: v_dual_and_b32 v1, 0x7ffffffc, v1
	s_delay_alu instid0(VALU_DEP_1)
	v_add_nc_u32_e32 v0, v3, v0
	global_store_b32 v1, v0, s[6:7]
.LBB120_2:
	s_nop 0
	s_sendmsg sendmsg(MSG_DEALLOC_VGPRS)
	s_endpgm
	.section	.rodata,"a",@progbits
	.p2align	6, 0x0
	.amdhsa_kernel _Z24warp_reduce_valid_kernelIiLj32ELj8EENSt9enable_ifIXsr10test_utilsE35device_test_enabled_for_warp_size_vIXT1_EEEvE4typeEPT_S4_i
		.amdhsa_group_segment_fixed_size 0
		.amdhsa_private_segment_fixed_size 0
		.amdhsa_kernarg_size 280
		.amdhsa_user_sgpr_count 15
		.amdhsa_user_sgpr_dispatch_ptr 0
		.amdhsa_user_sgpr_queue_ptr 0
		.amdhsa_user_sgpr_kernarg_segment_ptr 1
		.amdhsa_user_sgpr_dispatch_id 0
		.amdhsa_user_sgpr_private_segment_size 0
		.amdhsa_wavefront_size32 1
		.amdhsa_uses_dynamic_stack 0
		.amdhsa_enable_private_segment 0
		.amdhsa_system_sgpr_workgroup_id_x 1
		.amdhsa_system_sgpr_workgroup_id_y 0
		.amdhsa_system_sgpr_workgroup_id_z 0
		.amdhsa_system_sgpr_workgroup_info 0
		.amdhsa_system_vgpr_workitem_id 0
		.amdhsa_next_free_vgpr 8
		.amdhsa_next_free_sgpr 16
		.amdhsa_reserve_vcc 1
		.amdhsa_float_round_mode_32 0
		.amdhsa_float_round_mode_16_64 0
		.amdhsa_float_denorm_mode_32 3
		.amdhsa_float_denorm_mode_16_64 3
		.amdhsa_dx10_clamp 1
		.amdhsa_ieee_mode 1
		.amdhsa_fp16_overflow 0
		.amdhsa_workgroup_processor_mode 1
		.amdhsa_memory_ordered 1
		.amdhsa_forward_progress 0
		.amdhsa_shared_vgpr_count 0
		.amdhsa_exception_fp_ieee_invalid_op 0
		.amdhsa_exception_fp_denorm_src 0
		.amdhsa_exception_fp_ieee_div_zero 0
		.amdhsa_exception_fp_ieee_overflow 0
		.amdhsa_exception_fp_ieee_underflow 0
		.amdhsa_exception_fp_ieee_inexact 0
		.amdhsa_exception_int_div_zero 0
	.end_amdhsa_kernel
	.section	.text._Z24warp_reduce_valid_kernelIiLj32ELj8EENSt9enable_ifIXsr10test_utilsE35device_test_enabled_for_warp_size_vIXT1_EEEvE4typeEPT_S4_i,"axG",@progbits,_Z24warp_reduce_valid_kernelIiLj32ELj8EENSt9enable_ifIXsr10test_utilsE35device_test_enabled_for_warp_size_vIXT1_EEEvE4typeEPT_S4_i,comdat
.Lfunc_end120:
	.size	_Z24warp_reduce_valid_kernelIiLj32ELj8EENSt9enable_ifIXsr10test_utilsE35device_test_enabled_for_warp_size_vIXT1_EEEvE4typeEPT_S4_i, .Lfunc_end120-_Z24warp_reduce_valid_kernelIiLj32ELj8EENSt9enable_ifIXsr10test_utilsE35device_test_enabled_for_warp_size_vIXT1_EEEvE4typeEPT_S4_i
                                        ; -- End function
	.section	.AMDGPU.csdata,"",@progbits
; Kernel info:
; codeLenInByte = 320
; NumSgprs: 18
; NumVgprs: 8
; ScratchSize: 0
; MemoryBound: 0
; FloatMode: 240
; IeeeMode: 1
; LDSByteSize: 0 bytes/workgroup (compile time only)
; SGPRBlocks: 2
; VGPRBlocks: 0
; NumSGPRsForWavesPerEU: 18
; NumVGPRsForWavesPerEU: 8
; Occupancy: 16
; WaveLimiterHint : 0
; COMPUTE_PGM_RSRC2:SCRATCH_EN: 0
; COMPUTE_PGM_RSRC2:USER_SGPR: 15
; COMPUTE_PGM_RSRC2:TRAP_HANDLER: 0
; COMPUTE_PGM_RSRC2:TGID_X_EN: 1
; COMPUTE_PGM_RSRC2:TGID_Y_EN: 0
; COMPUTE_PGM_RSRC2:TGID_Z_EN: 0
; COMPUTE_PGM_RSRC2:TIDIG_COMP_CNT: 0
	.section	.text._Z24warp_reduce_valid_kernelIiLj64ELj8EENSt9enable_ifIXsr10test_utilsE35device_test_enabled_for_warp_size_vIXT1_EEEvE4typeEPT_S4_i,"axG",@progbits,_Z24warp_reduce_valid_kernelIiLj64ELj8EENSt9enable_ifIXsr10test_utilsE35device_test_enabled_for_warp_size_vIXT1_EEEvE4typeEPT_S4_i,comdat
	.protected	_Z24warp_reduce_valid_kernelIiLj64ELj8EENSt9enable_ifIXsr10test_utilsE35device_test_enabled_for_warp_size_vIXT1_EEEvE4typeEPT_S4_i ; -- Begin function _Z24warp_reduce_valid_kernelIiLj64ELj8EENSt9enable_ifIXsr10test_utilsE35device_test_enabled_for_warp_size_vIXT1_EEEvE4typeEPT_S4_i
	.globl	_Z24warp_reduce_valid_kernelIiLj64ELj8EENSt9enable_ifIXsr10test_utilsE35device_test_enabled_for_warp_size_vIXT1_EEEvE4typeEPT_S4_i
	.p2align	8
	.type	_Z24warp_reduce_valid_kernelIiLj64ELj8EENSt9enable_ifIXsr10test_utilsE35device_test_enabled_for_warp_size_vIXT1_EEEvE4typeEPT_S4_i,@function
_Z24warp_reduce_valid_kernelIiLj64ELj8EENSt9enable_ifIXsr10test_utilsE35device_test_enabled_for_warp_size_vIXT1_EEEvE4typeEPT_S4_i: ; @_Z24warp_reduce_valid_kernelIiLj64ELj8EENSt9enable_ifIXsr10test_utilsE35device_test_enabled_for_warp_size_vIXT1_EEEvE4typeEPT_S4_i
; %bb.0:
	s_clause 0x1
	s_load_b32 s2, s[0:1], 0x24
	s_load_b128 s[4:7], s[0:1], 0x0
	v_mbcnt_lo_u32_b32 v4, -1, 0
	s_load_b32 s0, s[0:1], 0x10
	s_mov_b32 s1, exec_lo
	s_waitcnt lgkmcnt(0)
	s_and_b32 s2, s2, 0xffff
	s_delay_alu instid0(SALU_CYCLE_1) | instskip(SKIP_2) | instid1(VALU_DEP_2)
	v_mad_u64_u32 v[1:2], null, s15, s2, v[0:1]
	v_mov_b32_e32 v2, 0
	v_and_b32_e32 v0, 7, v0
	v_lshlrev_b64 v[2:3], 2, v[1:2]
	s_delay_alu instid0(VALU_DEP_1) | instskip(NEXT) | instid1(VALU_DEP_2)
	v_add_co_u32 v2, vcc_lo, s4, v2
	v_add_co_ci_u32_e32 v3, vcc_lo, s5, v3, vcc_lo
	global_load_b32 v3, v[2:3], off
	v_and_b32_e32 v2, 7, v4
	s_delay_alu instid0(VALU_DEP_1) | instskip(SKIP_3) | instid1(VALU_DEP_2)
	v_cmp_ne_u32_e32 vcc_lo, 7, v2
	v_add_nc_u32_e32 v7, 1, v2
	v_add_co_ci_u32_e32 v5, vcc_lo, 0, v4, vcc_lo
	v_cmp_gt_u32_e32 vcc_lo, 6, v2
	v_lshlrev_b32_e32 v5, 2, v5
	v_cndmask_b32_e64 v6, 0, 1, vcc_lo
	v_cmp_gt_u32_e32 vcc_lo, s0, v7
	s_delay_alu instid0(VALU_DEP_2) | instskip(NEXT) | instid1(VALU_DEP_1)
	v_lshlrev_b32_e32 v6, 1, v6
	v_add_lshl_u32 v6, v6, v4, 2
	s_waitcnt vmcnt(0)
	ds_bpermute_b32 v5, v5, v3
	s_waitcnt lgkmcnt(0)
	v_cndmask_b32_e32 v5, 0, v5, vcc_lo
	v_cmp_gt_u32_e32 vcc_lo, 4, v2
	s_delay_alu instid0(VALU_DEP_2) | instskip(SKIP_3) | instid1(VALU_DEP_1)
	v_add_nc_u32_e32 v3, v5, v3
	v_cndmask_b32_e64 v7, 0, 1, vcc_lo
	ds_bpermute_b32 v5, v6, v3
	v_add_nc_u32_e32 v6, 2, v2
	v_cmp_gt_u32_e32 vcc_lo, s0, v6
	v_lshlrev_b32_e32 v6, 2, v7
	s_delay_alu instid0(VALU_DEP_1) | instskip(SKIP_2) | instid1(VALU_DEP_1)
	v_add_lshl_u32 v4, v6, v4, 2
	s_waitcnt lgkmcnt(0)
	v_cndmask_b32_e32 v5, 0, v5, vcc_lo
	v_add_nc_u32_e32 v3, v3, v5
	ds_bpermute_b32 v4, v4, v3
	v_cmpx_eq_u32_e32 0, v0
	s_cbranch_execz .LBB121_2
; %bb.1:
	v_add_nc_u32_e32 v0, 4, v2
	v_lshrrev_b32_e32 v1, 1, v1
	s_delay_alu instid0(VALU_DEP_2) | instskip(SKIP_1) | instid1(VALU_DEP_2)
	v_cmp_gt_u32_e32 vcc_lo, s0, v0
	s_waitcnt lgkmcnt(0)
	v_dual_cndmask_b32 v0, 0, v4 :: v_dual_and_b32 v1, 0x7ffffffc, v1
	s_delay_alu instid0(VALU_DEP_1)
	v_add_nc_u32_e32 v0, v3, v0
	global_store_b32 v1, v0, s[6:7]
.LBB121_2:
	s_nop 0
	s_sendmsg sendmsg(MSG_DEALLOC_VGPRS)
	s_endpgm
	.section	.rodata,"a",@progbits
	.p2align	6, 0x0
	.amdhsa_kernel _Z24warp_reduce_valid_kernelIiLj64ELj8EENSt9enable_ifIXsr10test_utilsE35device_test_enabled_for_warp_size_vIXT1_EEEvE4typeEPT_S4_i
		.amdhsa_group_segment_fixed_size 0
		.amdhsa_private_segment_fixed_size 0
		.amdhsa_kernarg_size 280
		.amdhsa_user_sgpr_count 15
		.amdhsa_user_sgpr_dispatch_ptr 0
		.amdhsa_user_sgpr_queue_ptr 0
		.amdhsa_user_sgpr_kernarg_segment_ptr 1
		.amdhsa_user_sgpr_dispatch_id 0
		.amdhsa_user_sgpr_private_segment_size 0
		.amdhsa_wavefront_size32 1
		.amdhsa_uses_dynamic_stack 0
		.amdhsa_enable_private_segment 0
		.amdhsa_system_sgpr_workgroup_id_x 1
		.amdhsa_system_sgpr_workgroup_id_y 0
		.amdhsa_system_sgpr_workgroup_id_z 0
		.amdhsa_system_sgpr_workgroup_info 0
		.amdhsa_system_vgpr_workitem_id 0
		.amdhsa_next_free_vgpr 8
		.amdhsa_next_free_sgpr 16
		.amdhsa_reserve_vcc 1
		.amdhsa_float_round_mode_32 0
		.amdhsa_float_round_mode_16_64 0
		.amdhsa_float_denorm_mode_32 3
		.amdhsa_float_denorm_mode_16_64 3
		.amdhsa_dx10_clamp 1
		.amdhsa_ieee_mode 1
		.amdhsa_fp16_overflow 0
		.amdhsa_workgroup_processor_mode 1
		.amdhsa_memory_ordered 1
		.amdhsa_forward_progress 0
		.amdhsa_shared_vgpr_count 0
		.amdhsa_exception_fp_ieee_invalid_op 0
		.amdhsa_exception_fp_denorm_src 0
		.amdhsa_exception_fp_ieee_div_zero 0
		.amdhsa_exception_fp_ieee_overflow 0
		.amdhsa_exception_fp_ieee_underflow 0
		.amdhsa_exception_fp_ieee_inexact 0
		.amdhsa_exception_int_div_zero 0
	.end_amdhsa_kernel
	.section	.text._Z24warp_reduce_valid_kernelIiLj64ELj8EENSt9enable_ifIXsr10test_utilsE35device_test_enabled_for_warp_size_vIXT1_EEEvE4typeEPT_S4_i,"axG",@progbits,_Z24warp_reduce_valid_kernelIiLj64ELj8EENSt9enable_ifIXsr10test_utilsE35device_test_enabled_for_warp_size_vIXT1_EEEvE4typeEPT_S4_i,comdat
.Lfunc_end121:
	.size	_Z24warp_reduce_valid_kernelIiLj64ELj8EENSt9enable_ifIXsr10test_utilsE35device_test_enabled_for_warp_size_vIXT1_EEEvE4typeEPT_S4_i, .Lfunc_end121-_Z24warp_reduce_valid_kernelIiLj64ELj8EENSt9enable_ifIXsr10test_utilsE35device_test_enabled_for_warp_size_vIXT1_EEEvE4typeEPT_S4_i
                                        ; -- End function
	.section	.AMDGPU.csdata,"",@progbits
; Kernel info:
; codeLenInByte = 320
; NumSgprs: 18
; NumVgprs: 8
; ScratchSize: 0
; MemoryBound: 0
; FloatMode: 240
; IeeeMode: 1
; LDSByteSize: 0 bytes/workgroup (compile time only)
; SGPRBlocks: 2
; VGPRBlocks: 0
; NumSGPRsForWavesPerEU: 18
; NumVGPRsForWavesPerEU: 8
; Occupancy: 16
; WaveLimiterHint : 0
; COMPUTE_PGM_RSRC2:SCRATCH_EN: 0
; COMPUTE_PGM_RSRC2:USER_SGPR: 15
; COMPUTE_PGM_RSRC2:TRAP_HANDLER: 0
; COMPUTE_PGM_RSRC2:TGID_X_EN: 1
; COMPUTE_PGM_RSRC2:TGID_Y_EN: 0
; COMPUTE_PGM_RSRC2:TGID_Z_EN: 0
; COMPUTE_PGM_RSRC2:TIDIG_COMP_CNT: 0
	.section	.text._Z24warp_reduce_valid_kernelIiLj32ELj4EENSt9enable_ifIXsr10test_utilsE35device_test_enabled_for_warp_size_vIXT1_EEEvE4typeEPT_S4_i,"axG",@progbits,_Z24warp_reduce_valid_kernelIiLj32ELj4EENSt9enable_ifIXsr10test_utilsE35device_test_enabled_for_warp_size_vIXT1_EEEvE4typeEPT_S4_i,comdat
	.protected	_Z24warp_reduce_valid_kernelIiLj32ELj4EENSt9enable_ifIXsr10test_utilsE35device_test_enabled_for_warp_size_vIXT1_EEEvE4typeEPT_S4_i ; -- Begin function _Z24warp_reduce_valid_kernelIiLj32ELj4EENSt9enable_ifIXsr10test_utilsE35device_test_enabled_for_warp_size_vIXT1_EEEvE4typeEPT_S4_i
	.globl	_Z24warp_reduce_valid_kernelIiLj32ELj4EENSt9enable_ifIXsr10test_utilsE35device_test_enabled_for_warp_size_vIXT1_EEEvE4typeEPT_S4_i
	.p2align	8
	.type	_Z24warp_reduce_valid_kernelIiLj32ELj4EENSt9enable_ifIXsr10test_utilsE35device_test_enabled_for_warp_size_vIXT1_EEEvE4typeEPT_S4_i,@function
_Z24warp_reduce_valid_kernelIiLj32ELj4EENSt9enable_ifIXsr10test_utilsE35device_test_enabled_for_warp_size_vIXT1_EEEvE4typeEPT_S4_i: ; @_Z24warp_reduce_valid_kernelIiLj32ELj4EENSt9enable_ifIXsr10test_utilsE35device_test_enabled_for_warp_size_vIXT1_EEEvE4typeEPT_S4_i
; %bb.0:
	s_clause 0x1
	s_load_b32 s2, s[0:1], 0x24
	s_load_b128 s[4:7], s[0:1], 0x0
	v_mbcnt_lo_u32_b32 v4, -1, 0
	s_load_b32 s0, s[0:1], 0x10
	s_mov_b32 s1, exec_lo
	s_waitcnt lgkmcnt(0)
	s_and_b32 s2, s2, 0xffff
	s_delay_alu instid0(SALU_CYCLE_1) | instskip(SKIP_2) | instid1(VALU_DEP_2)
	v_mad_u64_u32 v[1:2], null, s15, s2, v[0:1]
	v_mov_b32_e32 v2, 0
	v_and_b32_e32 v0, 3, v0
	v_lshlrev_b64 v[2:3], 2, v[1:2]
	s_delay_alu instid0(VALU_DEP_1) | instskip(NEXT) | instid1(VALU_DEP_2)
	v_add_co_u32 v2, vcc_lo, s4, v2
	v_add_co_ci_u32_e32 v3, vcc_lo, s5, v3, vcc_lo
	global_load_b32 v3, v[2:3], off
	v_and_b32_e32 v2, 3, v4
	s_delay_alu instid0(VALU_DEP_1) | instskip(SKIP_3) | instid1(VALU_DEP_2)
	v_cmp_ne_u32_e32 vcc_lo, 3, v2
	v_add_nc_u32_e32 v6, 1, v2
	v_add_co_ci_u32_e32 v5, vcc_lo, 0, v4, vcc_lo
	v_cmp_gt_u32_e32 vcc_lo, 2, v2
	v_lshlrev_b32_e32 v5, 2, v5
	v_cndmask_b32_e64 v7, 0, 1, vcc_lo
	v_cmp_gt_u32_e32 vcc_lo, s0, v6
	s_delay_alu instid0(VALU_DEP_2) | instskip(NEXT) | instid1(VALU_DEP_1)
	v_lshlrev_b32_e32 v6, 1, v7
	v_add_lshl_u32 v4, v6, v4, 2
	s_waitcnt vmcnt(0)
	ds_bpermute_b32 v5, v5, v3
	s_waitcnt lgkmcnt(0)
	v_cndmask_b32_e32 v5, 0, v5, vcc_lo
	s_delay_alu instid0(VALU_DEP_1)
	v_add_nc_u32_e32 v3, v5, v3
	ds_bpermute_b32 v4, v4, v3
	v_cmpx_eq_u32_e32 0, v0
	s_cbranch_execz .LBB122_2
; %bb.1:
	v_add_nc_u32_e32 v0, 2, v2
	v_and_b32_e32 v1, -4, v1
	s_delay_alu instid0(VALU_DEP_2) | instskip(SKIP_2) | instid1(VALU_DEP_1)
	v_cmp_gt_u32_e32 vcc_lo, s0, v0
	s_waitcnt lgkmcnt(0)
	v_cndmask_b32_e32 v0, 0, v4, vcc_lo
	v_add_nc_u32_e32 v0, v3, v0
	global_store_b32 v1, v0, s[6:7]
.LBB122_2:
	s_nop 0
	s_sendmsg sendmsg(MSG_DEALLOC_VGPRS)
	s_endpgm
	.section	.rodata,"a",@progbits
	.p2align	6, 0x0
	.amdhsa_kernel _Z24warp_reduce_valid_kernelIiLj32ELj4EENSt9enable_ifIXsr10test_utilsE35device_test_enabled_for_warp_size_vIXT1_EEEvE4typeEPT_S4_i
		.amdhsa_group_segment_fixed_size 0
		.amdhsa_private_segment_fixed_size 0
		.amdhsa_kernarg_size 280
		.amdhsa_user_sgpr_count 15
		.amdhsa_user_sgpr_dispatch_ptr 0
		.amdhsa_user_sgpr_queue_ptr 0
		.amdhsa_user_sgpr_kernarg_segment_ptr 1
		.amdhsa_user_sgpr_dispatch_id 0
		.amdhsa_user_sgpr_private_segment_size 0
		.amdhsa_wavefront_size32 1
		.amdhsa_uses_dynamic_stack 0
		.amdhsa_enable_private_segment 0
		.amdhsa_system_sgpr_workgroup_id_x 1
		.amdhsa_system_sgpr_workgroup_id_y 0
		.amdhsa_system_sgpr_workgroup_id_z 0
		.amdhsa_system_sgpr_workgroup_info 0
		.amdhsa_system_vgpr_workitem_id 0
		.amdhsa_next_free_vgpr 8
		.amdhsa_next_free_sgpr 16
		.amdhsa_reserve_vcc 1
		.amdhsa_float_round_mode_32 0
		.amdhsa_float_round_mode_16_64 0
		.amdhsa_float_denorm_mode_32 3
		.amdhsa_float_denorm_mode_16_64 3
		.amdhsa_dx10_clamp 1
		.amdhsa_ieee_mode 1
		.amdhsa_fp16_overflow 0
		.amdhsa_workgroup_processor_mode 1
		.amdhsa_memory_ordered 1
		.amdhsa_forward_progress 0
		.amdhsa_shared_vgpr_count 0
		.amdhsa_exception_fp_ieee_invalid_op 0
		.amdhsa_exception_fp_denorm_src 0
		.amdhsa_exception_fp_ieee_div_zero 0
		.amdhsa_exception_fp_ieee_overflow 0
		.amdhsa_exception_fp_ieee_underflow 0
		.amdhsa_exception_fp_ieee_inexact 0
		.amdhsa_exception_int_div_zero 0
	.end_amdhsa_kernel
	.section	.text._Z24warp_reduce_valid_kernelIiLj32ELj4EENSt9enable_ifIXsr10test_utilsE35device_test_enabled_for_warp_size_vIXT1_EEEvE4typeEPT_S4_i,"axG",@progbits,_Z24warp_reduce_valid_kernelIiLj32ELj4EENSt9enable_ifIXsr10test_utilsE35device_test_enabled_for_warp_size_vIXT1_EEEvE4typeEPT_S4_i,comdat
.Lfunc_end122:
	.size	_Z24warp_reduce_valid_kernelIiLj32ELj4EENSt9enable_ifIXsr10test_utilsE35device_test_enabled_for_warp_size_vIXT1_EEEvE4typeEPT_S4_i, .Lfunc_end122-_Z24warp_reduce_valid_kernelIiLj32ELj4EENSt9enable_ifIXsr10test_utilsE35device_test_enabled_for_warp_size_vIXT1_EEEvE4typeEPT_S4_i
                                        ; -- End function
	.section	.AMDGPU.csdata,"",@progbits
; Kernel info:
; codeLenInByte = 252
; NumSgprs: 18
; NumVgprs: 8
; ScratchSize: 0
; MemoryBound: 0
; FloatMode: 240
; IeeeMode: 1
; LDSByteSize: 0 bytes/workgroup (compile time only)
; SGPRBlocks: 2
; VGPRBlocks: 0
; NumSGPRsForWavesPerEU: 18
; NumVGPRsForWavesPerEU: 8
; Occupancy: 16
; WaveLimiterHint : 0
; COMPUTE_PGM_RSRC2:SCRATCH_EN: 0
; COMPUTE_PGM_RSRC2:USER_SGPR: 15
; COMPUTE_PGM_RSRC2:TRAP_HANDLER: 0
; COMPUTE_PGM_RSRC2:TGID_X_EN: 1
; COMPUTE_PGM_RSRC2:TGID_Y_EN: 0
; COMPUTE_PGM_RSRC2:TGID_Z_EN: 0
; COMPUTE_PGM_RSRC2:TIDIG_COMP_CNT: 0
	.section	.text._Z24warp_reduce_valid_kernelIiLj64ELj4EENSt9enable_ifIXsr10test_utilsE35device_test_enabled_for_warp_size_vIXT1_EEEvE4typeEPT_S4_i,"axG",@progbits,_Z24warp_reduce_valid_kernelIiLj64ELj4EENSt9enable_ifIXsr10test_utilsE35device_test_enabled_for_warp_size_vIXT1_EEEvE4typeEPT_S4_i,comdat
	.protected	_Z24warp_reduce_valid_kernelIiLj64ELj4EENSt9enable_ifIXsr10test_utilsE35device_test_enabled_for_warp_size_vIXT1_EEEvE4typeEPT_S4_i ; -- Begin function _Z24warp_reduce_valid_kernelIiLj64ELj4EENSt9enable_ifIXsr10test_utilsE35device_test_enabled_for_warp_size_vIXT1_EEEvE4typeEPT_S4_i
	.globl	_Z24warp_reduce_valid_kernelIiLj64ELj4EENSt9enable_ifIXsr10test_utilsE35device_test_enabled_for_warp_size_vIXT1_EEEvE4typeEPT_S4_i
	.p2align	8
	.type	_Z24warp_reduce_valid_kernelIiLj64ELj4EENSt9enable_ifIXsr10test_utilsE35device_test_enabled_for_warp_size_vIXT1_EEEvE4typeEPT_S4_i,@function
_Z24warp_reduce_valid_kernelIiLj64ELj4EENSt9enable_ifIXsr10test_utilsE35device_test_enabled_for_warp_size_vIXT1_EEEvE4typeEPT_S4_i: ; @_Z24warp_reduce_valid_kernelIiLj64ELj4EENSt9enable_ifIXsr10test_utilsE35device_test_enabled_for_warp_size_vIXT1_EEEvE4typeEPT_S4_i
; %bb.0:
	s_clause 0x1
	s_load_b32 s2, s[0:1], 0x24
	s_load_b128 s[4:7], s[0:1], 0x0
	v_mbcnt_lo_u32_b32 v4, -1, 0
	s_load_b32 s0, s[0:1], 0x10
	s_mov_b32 s1, exec_lo
	s_waitcnt lgkmcnt(0)
	s_and_b32 s2, s2, 0xffff
	s_delay_alu instid0(SALU_CYCLE_1) | instskip(SKIP_2) | instid1(VALU_DEP_2)
	v_mad_u64_u32 v[1:2], null, s15, s2, v[0:1]
	v_mov_b32_e32 v2, 0
	v_and_b32_e32 v0, 3, v0
	v_lshlrev_b64 v[2:3], 2, v[1:2]
	s_delay_alu instid0(VALU_DEP_1) | instskip(NEXT) | instid1(VALU_DEP_2)
	v_add_co_u32 v2, vcc_lo, s4, v2
	v_add_co_ci_u32_e32 v3, vcc_lo, s5, v3, vcc_lo
	global_load_b32 v3, v[2:3], off
	v_and_b32_e32 v2, 3, v4
	s_delay_alu instid0(VALU_DEP_1) | instskip(SKIP_3) | instid1(VALU_DEP_2)
	v_cmp_ne_u32_e32 vcc_lo, 3, v2
	v_add_nc_u32_e32 v6, 1, v2
	v_add_co_ci_u32_e32 v5, vcc_lo, 0, v4, vcc_lo
	v_cmp_gt_u32_e32 vcc_lo, 2, v2
	v_lshlrev_b32_e32 v5, 2, v5
	v_cndmask_b32_e64 v7, 0, 1, vcc_lo
	v_cmp_gt_u32_e32 vcc_lo, s0, v6
	s_delay_alu instid0(VALU_DEP_2) | instskip(NEXT) | instid1(VALU_DEP_1)
	v_lshlrev_b32_e32 v6, 1, v7
	v_add_lshl_u32 v4, v6, v4, 2
	s_waitcnt vmcnt(0)
	ds_bpermute_b32 v5, v5, v3
	s_waitcnt lgkmcnt(0)
	v_cndmask_b32_e32 v5, 0, v5, vcc_lo
	s_delay_alu instid0(VALU_DEP_1)
	v_add_nc_u32_e32 v3, v5, v3
	ds_bpermute_b32 v4, v4, v3
	v_cmpx_eq_u32_e32 0, v0
	s_cbranch_execz .LBB123_2
; %bb.1:
	v_add_nc_u32_e32 v0, 2, v2
	v_and_b32_e32 v1, -4, v1
	s_delay_alu instid0(VALU_DEP_2) | instskip(SKIP_2) | instid1(VALU_DEP_1)
	v_cmp_gt_u32_e32 vcc_lo, s0, v0
	s_waitcnt lgkmcnt(0)
	v_cndmask_b32_e32 v0, 0, v4, vcc_lo
	v_add_nc_u32_e32 v0, v3, v0
	global_store_b32 v1, v0, s[6:7]
.LBB123_2:
	s_nop 0
	s_sendmsg sendmsg(MSG_DEALLOC_VGPRS)
	s_endpgm
	.section	.rodata,"a",@progbits
	.p2align	6, 0x0
	.amdhsa_kernel _Z24warp_reduce_valid_kernelIiLj64ELj4EENSt9enable_ifIXsr10test_utilsE35device_test_enabled_for_warp_size_vIXT1_EEEvE4typeEPT_S4_i
		.amdhsa_group_segment_fixed_size 0
		.amdhsa_private_segment_fixed_size 0
		.amdhsa_kernarg_size 280
		.amdhsa_user_sgpr_count 15
		.amdhsa_user_sgpr_dispatch_ptr 0
		.amdhsa_user_sgpr_queue_ptr 0
		.amdhsa_user_sgpr_kernarg_segment_ptr 1
		.amdhsa_user_sgpr_dispatch_id 0
		.amdhsa_user_sgpr_private_segment_size 0
		.amdhsa_wavefront_size32 1
		.amdhsa_uses_dynamic_stack 0
		.amdhsa_enable_private_segment 0
		.amdhsa_system_sgpr_workgroup_id_x 1
		.amdhsa_system_sgpr_workgroup_id_y 0
		.amdhsa_system_sgpr_workgroup_id_z 0
		.amdhsa_system_sgpr_workgroup_info 0
		.amdhsa_system_vgpr_workitem_id 0
		.amdhsa_next_free_vgpr 8
		.amdhsa_next_free_sgpr 16
		.amdhsa_reserve_vcc 1
		.amdhsa_float_round_mode_32 0
		.amdhsa_float_round_mode_16_64 0
		.amdhsa_float_denorm_mode_32 3
		.amdhsa_float_denorm_mode_16_64 3
		.amdhsa_dx10_clamp 1
		.amdhsa_ieee_mode 1
		.amdhsa_fp16_overflow 0
		.amdhsa_workgroup_processor_mode 1
		.amdhsa_memory_ordered 1
		.amdhsa_forward_progress 0
		.amdhsa_shared_vgpr_count 0
		.amdhsa_exception_fp_ieee_invalid_op 0
		.amdhsa_exception_fp_denorm_src 0
		.amdhsa_exception_fp_ieee_div_zero 0
		.amdhsa_exception_fp_ieee_overflow 0
		.amdhsa_exception_fp_ieee_underflow 0
		.amdhsa_exception_fp_ieee_inexact 0
		.amdhsa_exception_int_div_zero 0
	.end_amdhsa_kernel
	.section	.text._Z24warp_reduce_valid_kernelIiLj64ELj4EENSt9enable_ifIXsr10test_utilsE35device_test_enabled_for_warp_size_vIXT1_EEEvE4typeEPT_S4_i,"axG",@progbits,_Z24warp_reduce_valid_kernelIiLj64ELj4EENSt9enable_ifIXsr10test_utilsE35device_test_enabled_for_warp_size_vIXT1_EEEvE4typeEPT_S4_i,comdat
.Lfunc_end123:
	.size	_Z24warp_reduce_valid_kernelIiLj64ELj4EENSt9enable_ifIXsr10test_utilsE35device_test_enabled_for_warp_size_vIXT1_EEEvE4typeEPT_S4_i, .Lfunc_end123-_Z24warp_reduce_valid_kernelIiLj64ELj4EENSt9enable_ifIXsr10test_utilsE35device_test_enabled_for_warp_size_vIXT1_EEEvE4typeEPT_S4_i
                                        ; -- End function
	.section	.AMDGPU.csdata,"",@progbits
; Kernel info:
; codeLenInByte = 252
; NumSgprs: 18
; NumVgprs: 8
; ScratchSize: 0
; MemoryBound: 0
; FloatMode: 240
; IeeeMode: 1
; LDSByteSize: 0 bytes/workgroup (compile time only)
; SGPRBlocks: 2
; VGPRBlocks: 0
; NumSGPRsForWavesPerEU: 18
; NumVGPRsForWavesPerEU: 8
; Occupancy: 16
; WaveLimiterHint : 0
; COMPUTE_PGM_RSRC2:SCRATCH_EN: 0
; COMPUTE_PGM_RSRC2:USER_SGPR: 15
; COMPUTE_PGM_RSRC2:TRAP_HANDLER: 0
; COMPUTE_PGM_RSRC2:TGID_X_EN: 1
; COMPUTE_PGM_RSRC2:TGID_Y_EN: 0
; COMPUTE_PGM_RSRC2:TGID_Z_EN: 0
; COMPUTE_PGM_RSRC2:TIDIG_COMP_CNT: 0
	.section	.text._Z24warp_reduce_valid_kernelIiLj32ELj2EENSt9enable_ifIXsr10test_utilsE35device_test_enabled_for_warp_size_vIXT1_EEEvE4typeEPT_S4_i,"axG",@progbits,_Z24warp_reduce_valid_kernelIiLj32ELj2EENSt9enable_ifIXsr10test_utilsE35device_test_enabled_for_warp_size_vIXT1_EEEvE4typeEPT_S4_i,comdat
	.protected	_Z24warp_reduce_valid_kernelIiLj32ELj2EENSt9enable_ifIXsr10test_utilsE35device_test_enabled_for_warp_size_vIXT1_EEEvE4typeEPT_S4_i ; -- Begin function _Z24warp_reduce_valid_kernelIiLj32ELj2EENSt9enable_ifIXsr10test_utilsE35device_test_enabled_for_warp_size_vIXT1_EEEvE4typeEPT_S4_i
	.globl	_Z24warp_reduce_valid_kernelIiLj32ELj2EENSt9enable_ifIXsr10test_utilsE35device_test_enabled_for_warp_size_vIXT1_EEEvE4typeEPT_S4_i
	.p2align	8
	.type	_Z24warp_reduce_valid_kernelIiLj32ELj2EENSt9enable_ifIXsr10test_utilsE35device_test_enabled_for_warp_size_vIXT1_EEEvE4typeEPT_S4_i,@function
_Z24warp_reduce_valid_kernelIiLj32ELj2EENSt9enable_ifIXsr10test_utilsE35device_test_enabled_for_warp_size_vIXT1_EEEvE4typeEPT_S4_i: ; @_Z24warp_reduce_valid_kernelIiLj32ELj2EENSt9enable_ifIXsr10test_utilsE35device_test_enabled_for_warp_size_vIXT1_EEEvE4typeEPT_S4_i
; %bb.0:
	s_clause 0x1
	s_load_b32 s2, s[0:1], 0x24
	s_load_b128 s[4:7], s[0:1], 0x0
	v_mbcnt_lo_u32_b32 v5, -1, 0
	s_waitcnt lgkmcnt(0)
	s_and_b32 s2, s2, 0xffff
	s_delay_alu instid0(SALU_CYCLE_1) | instskip(SKIP_3) | instid1(VALU_DEP_2)
	v_mad_u64_u32 v[1:2], null, s15, s2, v[0:1]
	v_mov_b32_e32 v2, 0
	v_and_b32_e32 v0, 1, v0
	s_mov_b32 s2, exec_lo
	v_lshlrev_b64 v[3:4], 2, v[1:2]
	s_delay_alu instid0(VALU_DEP_1) | instskip(NEXT) | instid1(VALU_DEP_2)
	v_add_co_u32 v3, vcc_lo, s4, v3
	v_add_co_ci_u32_e32 v4, vcc_lo, s5, v4, vcc_lo
	global_load_b32 v3, v[3:4], off
	v_lshl_or_b32 v4, v5, 2, 4
	s_waitcnt vmcnt(0)
	ds_bpermute_b32 v4, v4, v3
	v_cmpx_eq_u32_e32 0, v0
	s_cbranch_execz .LBB124_2
; %bb.1:
	s_load_b32 s0, s[0:1], 0x10
	v_and_b32_e32 v0, 1, v5
	v_lshrrev_b32_e32 v1, 1, v1
	s_delay_alu instid0(VALU_DEP_2) | instskip(NEXT) | instid1(VALU_DEP_2)
	v_add_nc_u32_e32 v5, 1, v0
	v_lshlrev_b64 v[0:1], 2, v[1:2]
	s_waitcnt lgkmcnt(0)
	s_delay_alu instid0(VALU_DEP_2) | instskip(SKIP_1) | instid1(VALU_DEP_3)
	v_cmp_gt_u32_e32 vcc_lo, s0, v5
	v_cndmask_b32_e32 v2, 0, v4, vcc_lo
	v_add_co_u32 v0, vcc_lo, s6, v0
	s_delay_alu instid0(VALU_DEP_4) | instskip(NEXT) | instid1(VALU_DEP_3)
	v_add_co_ci_u32_e32 v1, vcc_lo, s7, v1, vcc_lo
	v_add_nc_u32_e32 v2, v2, v3
	global_store_b32 v[0:1], v2, off
.LBB124_2:
	s_nop 0
	s_sendmsg sendmsg(MSG_DEALLOC_VGPRS)
	s_endpgm
	.section	.rodata,"a",@progbits
	.p2align	6, 0x0
	.amdhsa_kernel _Z24warp_reduce_valid_kernelIiLj32ELj2EENSt9enable_ifIXsr10test_utilsE35device_test_enabled_for_warp_size_vIXT1_EEEvE4typeEPT_S4_i
		.amdhsa_group_segment_fixed_size 0
		.amdhsa_private_segment_fixed_size 0
		.amdhsa_kernarg_size 280
		.amdhsa_user_sgpr_count 15
		.amdhsa_user_sgpr_dispatch_ptr 0
		.amdhsa_user_sgpr_queue_ptr 0
		.amdhsa_user_sgpr_kernarg_segment_ptr 1
		.amdhsa_user_sgpr_dispatch_id 0
		.amdhsa_user_sgpr_private_segment_size 0
		.amdhsa_wavefront_size32 1
		.amdhsa_uses_dynamic_stack 0
		.amdhsa_enable_private_segment 0
		.amdhsa_system_sgpr_workgroup_id_x 1
		.amdhsa_system_sgpr_workgroup_id_y 0
		.amdhsa_system_sgpr_workgroup_id_z 0
		.amdhsa_system_sgpr_workgroup_info 0
		.amdhsa_system_vgpr_workitem_id 0
		.amdhsa_next_free_vgpr 6
		.amdhsa_next_free_sgpr 16
		.amdhsa_reserve_vcc 1
		.amdhsa_float_round_mode_32 0
		.amdhsa_float_round_mode_16_64 0
		.amdhsa_float_denorm_mode_32 3
		.amdhsa_float_denorm_mode_16_64 3
		.amdhsa_dx10_clamp 1
		.amdhsa_ieee_mode 1
		.amdhsa_fp16_overflow 0
		.amdhsa_workgroup_processor_mode 1
		.amdhsa_memory_ordered 1
		.amdhsa_forward_progress 0
		.amdhsa_shared_vgpr_count 0
		.amdhsa_exception_fp_ieee_invalid_op 0
		.amdhsa_exception_fp_denorm_src 0
		.amdhsa_exception_fp_ieee_div_zero 0
		.amdhsa_exception_fp_ieee_overflow 0
		.amdhsa_exception_fp_ieee_underflow 0
		.amdhsa_exception_fp_ieee_inexact 0
		.amdhsa_exception_int_div_zero 0
	.end_amdhsa_kernel
	.section	.text._Z24warp_reduce_valid_kernelIiLj32ELj2EENSt9enable_ifIXsr10test_utilsE35device_test_enabled_for_warp_size_vIXT1_EEEvE4typeEPT_S4_i,"axG",@progbits,_Z24warp_reduce_valid_kernelIiLj32ELj2EENSt9enable_ifIXsr10test_utilsE35device_test_enabled_for_warp_size_vIXT1_EEEvE4typeEPT_S4_i,comdat
.Lfunc_end124:
	.size	_Z24warp_reduce_valid_kernelIiLj32ELj2EENSt9enable_ifIXsr10test_utilsE35device_test_enabled_for_warp_size_vIXT1_EEEvE4typeEPT_S4_i, .Lfunc_end124-_Z24warp_reduce_valid_kernelIiLj32ELj2EENSt9enable_ifIXsr10test_utilsE35device_test_enabled_for_warp_size_vIXT1_EEEvE4typeEPT_S4_i
                                        ; -- End function
	.section	.AMDGPU.csdata,"",@progbits
; Kernel info:
; codeLenInByte = 212
; NumSgprs: 18
; NumVgprs: 6
; ScratchSize: 0
; MemoryBound: 0
; FloatMode: 240
; IeeeMode: 1
; LDSByteSize: 0 bytes/workgroup (compile time only)
; SGPRBlocks: 2
; VGPRBlocks: 0
; NumSGPRsForWavesPerEU: 18
; NumVGPRsForWavesPerEU: 6
; Occupancy: 16
; WaveLimiterHint : 0
; COMPUTE_PGM_RSRC2:SCRATCH_EN: 0
; COMPUTE_PGM_RSRC2:USER_SGPR: 15
; COMPUTE_PGM_RSRC2:TRAP_HANDLER: 0
; COMPUTE_PGM_RSRC2:TGID_X_EN: 1
; COMPUTE_PGM_RSRC2:TGID_Y_EN: 0
; COMPUTE_PGM_RSRC2:TGID_Z_EN: 0
; COMPUTE_PGM_RSRC2:TIDIG_COMP_CNT: 0
	.section	.text._Z24warp_reduce_valid_kernelIiLj64ELj2EENSt9enable_ifIXsr10test_utilsE35device_test_enabled_for_warp_size_vIXT1_EEEvE4typeEPT_S4_i,"axG",@progbits,_Z24warp_reduce_valid_kernelIiLj64ELj2EENSt9enable_ifIXsr10test_utilsE35device_test_enabled_for_warp_size_vIXT1_EEEvE4typeEPT_S4_i,comdat
	.protected	_Z24warp_reduce_valid_kernelIiLj64ELj2EENSt9enable_ifIXsr10test_utilsE35device_test_enabled_for_warp_size_vIXT1_EEEvE4typeEPT_S4_i ; -- Begin function _Z24warp_reduce_valid_kernelIiLj64ELj2EENSt9enable_ifIXsr10test_utilsE35device_test_enabled_for_warp_size_vIXT1_EEEvE4typeEPT_S4_i
	.globl	_Z24warp_reduce_valid_kernelIiLj64ELj2EENSt9enable_ifIXsr10test_utilsE35device_test_enabled_for_warp_size_vIXT1_EEEvE4typeEPT_S4_i
	.p2align	8
	.type	_Z24warp_reduce_valid_kernelIiLj64ELj2EENSt9enable_ifIXsr10test_utilsE35device_test_enabled_for_warp_size_vIXT1_EEEvE4typeEPT_S4_i,@function
_Z24warp_reduce_valid_kernelIiLj64ELj2EENSt9enable_ifIXsr10test_utilsE35device_test_enabled_for_warp_size_vIXT1_EEEvE4typeEPT_S4_i: ; @_Z24warp_reduce_valid_kernelIiLj64ELj2EENSt9enable_ifIXsr10test_utilsE35device_test_enabled_for_warp_size_vIXT1_EEEvE4typeEPT_S4_i
; %bb.0:
	s_clause 0x1
	s_load_b32 s2, s[0:1], 0x24
	s_load_b128 s[4:7], s[0:1], 0x0
	v_mbcnt_lo_u32_b32 v5, -1, 0
	s_waitcnt lgkmcnt(0)
	s_and_b32 s2, s2, 0xffff
	s_delay_alu instid0(SALU_CYCLE_1) | instskip(SKIP_3) | instid1(VALU_DEP_2)
	v_mad_u64_u32 v[1:2], null, s15, s2, v[0:1]
	v_mov_b32_e32 v2, 0
	v_and_b32_e32 v0, 1, v0
	s_mov_b32 s2, exec_lo
	v_lshlrev_b64 v[3:4], 2, v[1:2]
	s_delay_alu instid0(VALU_DEP_1) | instskip(NEXT) | instid1(VALU_DEP_2)
	v_add_co_u32 v3, vcc_lo, s4, v3
	v_add_co_ci_u32_e32 v4, vcc_lo, s5, v4, vcc_lo
	global_load_b32 v3, v[3:4], off
	v_lshl_or_b32 v4, v5, 2, 4
	s_waitcnt vmcnt(0)
	ds_bpermute_b32 v4, v4, v3
	v_cmpx_eq_u32_e32 0, v0
	s_cbranch_execz .LBB125_2
; %bb.1:
	s_load_b32 s0, s[0:1], 0x10
	v_and_b32_e32 v0, 1, v5
	v_lshrrev_b32_e32 v1, 1, v1
	s_delay_alu instid0(VALU_DEP_2) | instskip(NEXT) | instid1(VALU_DEP_2)
	v_add_nc_u32_e32 v5, 1, v0
	v_lshlrev_b64 v[0:1], 2, v[1:2]
	s_waitcnt lgkmcnt(0)
	s_delay_alu instid0(VALU_DEP_2) | instskip(SKIP_1) | instid1(VALU_DEP_3)
	v_cmp_gt_u32_e32 vcc_lo, s0, v5
	v_cndmask_b32_e32 v2, 0, v4, vcc_lo
	v_add_co_u32 v0, vcc_lo, s6, v0
	s_delay_alu instid0(VALU_DEP_4) | instskip(NEXT) | instid1(VALU_DEP_3)
	v_add_co_ci_u32_e32 v1, vcc_lo, s7, v1, vcc_lo
	v_add_nc_u32_e32 v2, v2, v3
	global_store_b32 v[0:1], v2, off
.LBB125_2:
	s_nop 0
	s_sendmsg sendmsg(MSG_DEALLOC_VGPRS)
	s_endpgm
	.section	.rodata,"a",@progbits
	.p2align	6, 0x0
	.amdhsa_kernel _Z24warp_reduce_valid_kernelIiLj64ELj2EENSt9enable_ifIXsr10test_utilsE35device_test_enabled_for_warp_size_vIXT1_EEEvE4typeEPT_S4_i
		.amdhsa_group_segment_fixed_size 0
		.amdhsa_private_segment_fixed_size 0
		.amdhsa_kernarg_size 280
		.amdhsa_user_sgpr_count 15
		.amdhsa_user_sgpr_dispatch_ptr 0
		.amdhsa_user_sgpr_queue_ptr 0
		.amdhsa_user_sgpr_kernarg_segment_ptr 1
		.amdhsa_user_sgpr_dispatch_id 0
		.amdhsa_user_sgpr_private_segment_size 0
		.amdhsa_wavefront_size32 1
		.amdhsa_uses_dynamic_stack 0
		.amdhsa_enable_private_segment 0
		.amdhsa_system_sgpr_workgroup_id_x 1
		.amdhsa_system_sgpr_workgroup_id_y 0
		.amdhsa_system_sgpr_workgroup_id_z 0
		.amdhsa_system_sgpr_workgroup_info 0
		.amdhsa_system_vgpr_workitem_id 0
		.amdhsa_next_free_vgpr 6
		.amdhsa_next_free_sgpr 16
		.amdhsa_reserve_vcc 1
		.amdhsa_float_round_mode_32 0
		.amdhsa_float_round_mode_16_64 0
		.amdhsa_float_denorm_mode_32 3
		.amdhsa_float_denorm_mode_16_64 3
		.amdhsa_dx10_clamp 1
		.amdhsa_ieee_mode 1
		.amdhsa_fp16_overflow 0
		.amdhsa_workgroup_processor_mode 1
		.amdhsa_memory_ordered 1
		.amdhsa_forward_progress 0
		.amdhsa_shared_vgpr_count 0
		.amdhsa_exception_fp_ieee_invalid_op 0
		.amdhsa_exception_fp_denorm_src 0
		.amdhsa_exception_fp_ieee_div_zero 0
		.amdhsa_exception_fp_ieee_overflow 0
		.amdhsa_exception_fp_ieee_underflow 0
		.amdhsa_exception_fp_ieee_inexact 0
		.amdhsa_exception_int_div_zero 0
	.end_amdhsa_kernel
	.section	.text._Z24warp_reduce_valid_kernelIiLj64ELj2EENSt9enable_ifIXsr10test_utilsE35device_test_enabled_for_warp_size_vIXT1_EEEvE4typeEPT_S4_i,"axG",@progbits,_Z24warp_reduce_valid_kernelIiLj64ELj2EENSt9enable_ifIXsr10test_utilsE35device_test_enabled_for_warp_size_vIXT1_EEEvE4typeEPT_S4_i,comdat
.Lfunc_end125:
	.size	_Z24warp_reduce_valid_kernelIiLj64ELj2EENSt9enable_ifIXsr10test_utilsE35device_test_enabled_for_warp_size_vIXT1_EEEvE4typeEPT_S4_i, .Lfunc_end125-_Z24warp_reduce_valid_kernelIiLj64ELj2EENSt9enable_ifIXsr10test_utilsE35device_test_enabled_for_warp_size_vIXT1_EEEvE4typeEPT_S4_i
                                        ; -- End function
	.section	.AMDGPU.csdata,"",@progbits
; Kernel info:
; codeLenInByte = 212
; NumSgprs: 18
; NumVgprs: 6
; ScratchSize: 0
; MemoryBound: 0
; FloatMode: 240
; IeeeMode: 1
; LDSByteSize: 0 bytes/workgroup (compile time only)
; SGPRBlocks: 2
; VGPRBlocks: 0
; NumSGPRsForWavesPerEU: 18
; NumVGPRsForWavesPerEU: 6
; Occupancy: 16
; WaveLimiterHint : 0
; COMPUTE_PGM_RSRC2:SCRATCH_EN: 0
; COMPUTE_PGM_RSRC2:USER_SGPR: 15
; COMPUTE_PGM_RSRC2:TRAP_HANDLER: 0
; COMPUTE_PGM_RSRC2:TGID_X_EN: 1
; COMPUTE_PGM_RSRC2:TGID_Y_EN: 0
; COMPUTE_PGM_RSRC2:TGID_Z_EN: 0
; COMPUTE_PGM_RSRC2:TIDIG_COMP_CNT: 0
	.section	.text._Z24warp_reduce_valid_kernelIiLj32ELj1EENSt9enable_ifIXsr10test_utilsE35device_test_enabled_for_warp_size_vIXT1_EEEvE4typeEPT_S4_i,"axG",@progbits,_Z24warp_reduce_valid_kernelIiLj32ELj1EENSt9enable_ifIXsr10test_utilsE35device_test_enabled_for_warp_size_vIXT1_EEEvE4typeEPT_S4_i,comdat
	.protected	_Z24warp_reduce_valid_kernelIiLj32ELj1EENSt9enable_ifIXsr10test_utilsE35device_test_enabled_for_warp_size_vIXT1_EEEvE4typeEPT_S4_i ; -- Begin function _Z24warp_reduce_valid_kernelIiLj32ELj1EENSt9enable_ifIXsr10test_utilsE35device_test_enabled_for_warp_size_vIXT1_EEEvE4typeEPT_S4_i
	.globl	_Z24warp_reduce_valid_kernelIiLj32ELj1EENSt9enable_ifIXsr10test_utilsE35device_test_enabled_for_warp_size_vIXT1_EEEvE4typeEPT_S4_i
	.p2align	8
	.type	_Z24warp_reduce_valid_kernelIiLj32ELj1EENSt9enable_ifIXsr10test_utilsE35device_test_enabled_for_warp_size_vIXT1_EEEvE4typeEPT_S4_i,@function
_Z24warp_reduce_valid_kernelIiLj32ELj1EENSt9enable_ifIXsr10test_utilsE35device_test_enabled_for_warp_size_vIXT1_EEEvE4typeEPT_S4_i: ; @_Z24warp_reduce_valid_kernelIiLj32ELj1EENSt9enable_ifIXsr10test_utilsE35device_test_enabled_for_warp_size_vIXT1_EEEvE4typeEPT_S4_i
; %bb.0:
	s_clause 0x1
	s_load_b32 s4, s[0:1], 0x24
	s_load_b128 s[0:3], s[0:1], 0x0
	s_waitcnt lgkmcnt(0)
	s_and_b32 s4, s4, 0xffff
	s_delay_alu instid0(SALU_CYCLE_1) | instskip(SKIP_1) | instid1(VALU_DEP_1)
	v_mad_u64_u32 v[1:2], null, s15, s4, v[0:1]
	v_mov_b32_e32 v2, 0
	v_lshlrev_b64 v[0:1], 2, v[1:2]
	s_delay_alu instid0(VALU_DEP_1) | instskip(NEXT) | instid1(VALU_DEP_2)
	v_add_co_u32 v2, vcc_lo, s0, v0
	v_add_co_ci_u32_e32 v3, vcc_lo, s1, v1, vcc_lo
	v_add_co_u32 v0, vcc_lo, s2, v0
	v_add_co_ci_u32_e32 v1, vcc_lo, s3, v1, vcc_lo
	global_load_b32 v2, v[2:3], off
	s_waitcnt vmcnt(0)
	global_store_b32 v[0:1], v2, off
	s_nop 0
	s_sendmsg sendmsg(MSG_DEALLOC_VGPRS)
	s_endpgm
	.section	.rodata,"a",@progbits
	.p2align	6, 0x0
	.amdhsa_kernel _Z24warp_reduce_valid_kernelIiLj32ELj1EENSt9enable_ifIXsr10test_utilsE35device_test_enabled_for_warp_size_vIXT1_EEEvE4typeEPT_S4_i
		.amdhsa_group_segment_fixed_size 0
		.amdhsa_private_segment_fixed_size 0
		.amdhsa_kernarg_size 280
		.amdhsa_user_sgpr_count 15
		.amdhsa_user_sgpr_dispatch_ptr 0
		.amdhsa_user_sgpr_queue_ptr 0
		.amdhsa_user_sgpr_kernarg_segment_ptr 1
		.amdhsa_user_sgpr_dispatch_id 0
		.amdhsa_user_sgpr_private_segment_size 0
		.amdhsa_wavefront_size32 1
		.amdhsa_uses_dynamic_stack 0
		.amdhsa_enable_private_segment 0
		.amdhsa_system_sgpr_workgroup_id_x 1
		.amdhsa_system_sgpr_workgroup_id_y 0
		.amdhsa_system_sgpr_workgroup_id_z 0
		.amdhsa_system_sgpr_workgroup_info 0
		.amdhsa_system_vgpr_workitem_id 0
		.amdhsa_next_free_vgpr 4
		.amdhsa_next_free_sgpr 16
		.amdhsa_reserve_vcc 1
		.amdhsa_float_round_mode_32 0
		.amdhsa_float_round_mode_16_64 0
		.amdhsa_float_denorm_mode_32 3
		.amdhsa_float_denorm_mode_16_64 3
		.amdhsa_dx10_clamp 1
		.amdhsa_ieee_mode 1
		.amdhsa_fp16_overflow 0
		.amdhsa_workgroup_processor_mode 1
		.amdhsa_memory_ordered 1
		.amdhsa_forward_progress 0
		.amdhsa_shared_vgpr_count 0
		.amdhsa_exception_fp_ieee_invalid_op 0
		.amdhsa_exception_fp_denorm_src 0
		.amdhsa_exception_fp_ieee_div_zero 0
		.amdhsa_exception_fp_ieee_overflow 0
		.amdhsa_exception_fp_ieee_underflow 0
		.amdhsa_exception_fp_ieee_inexact 0
		.amdhsa_exception_int_div_zero 0
	.end_amdhsa_kernel
	.section	.text._Z24warp_reduce_valid_kernelIiLj32ELj1EENSt9enable_ifIXsr10test_utilsE35device_test_enabled_for_warp_size_vIXT1_EEEvE4typeEPT_S4_i,"axG",@progbits,_Z24warp_reduce_valid_kernelIiLj32ELj1EENSt9enable_ifIXsr10test_utilsE35device_test_enabled_for_warp_size_vIXT1_EEEvE4typeEPT_S4_i,comdat
.Lfunc_end126:
	.size	_Z24warp_reduce_valid_kernelIiLj32ELj1EENSt9enable_ifIXsr10test_utilsE35device_test_enabled_for_warp_size_vIXT1_EEEvE4typeEPT_S4_i, .Lfunc_end126-_Z24warp_reduce_valid_kernelIiLj32ELj1EENSt9enable_ifIXsr10test_utilsE35device_test_enabled_for_warp_size_vIXT1_EEEvE4typeEPT_S4_i
                                        ; -- End function
	.section	.AMDGPU.csdata,"",@progbits
; Kernel info:
; codeLenInByte = 116
; NumSgprs: 18
; NumVgprs: 4
; ScratchSize: 0
; MemoryBound: 0
; FloatMode: 240
; IeeeMode: 1
; LDSByteSize: 0 bytes/workgroup (compile time only)
; SGPRBlocks: 2
; VGPRBlocks: 0
; NumSGPRsForWavesPerEU: 18
; NumVGPRsForWavesPerEU: 4
; Occupancy: 16
; WaveLimiterHint : 0
; COMPUTE_PGM_RSRC2:SCRATCH_EN: 0
; COMPUTE_PGM_RSRC2:USER_SGPR: 15
; COMPUTE_PGM_RSRC2:TRAP_HANDLER: 0
; COMPUTE_PGM_RSRC2:TGID_X_EN: 1
; COMPUTE_PGM_RSRC2:TGID_Y_EN: 0
; COMPUTE_PGM_RSRC2:TGID_Z_EN: 0
; COMPUTE_PGM_RSRC2:TIDIG_COMP_CNT: 0
	.section	.text._Z24warp_reduce_valid_kernelIiLj64ELj1EENSt9enable_ifIXsr10test_utilsE35device_test_enabled_for_warp_size_vIXT1_EEEvE4typeEPT_S4_i,"axG",@progbits,_Z24warp_reduce_valid_kernelIiLj64ELj1EENSt9enable_ifIXsr10test_utilsE35device_test_enabled_for_warp_size_vIXT1_EEEvE4typeEPT_S4_i,comdat
	.protected	_Z24warp_reduce_valid_kernelIiLj64ELj1EENSt9enable_ifIXsr10test_utilsE35device_test_enabled_for_warp_size_vIXT1_EEEvE4typeEPT_S4_i ; -- Begin function _Z24warp_reduce_valid_kernelIiLj64ELj1EENSt9enable_ifIXsr10test_utilsE35device_test_enabled_for_warp_size_vIXT1_EEEvE4typeEPT_S4_i
	.globl	_Z24warp_reduce_valid_kernelIiLj64ELj1EENSt9enable_ifIXsr10test_utilsE35device_test_enabled_for_warp_size_vIXT1_EEEvE4typeEPT_S4_i
	.p2align	8
	.type	_Z24warp_reduce_valid_kernelIiLj64ELj1EENSt9enable_ifIXsr10test_utilsE35device_test_enabled_for_warp_size_vIXT1_EEEvE4typeEPT_S4_i,@function
_Z24warp_reduce_valid_kernelIiLj64ELj1EENSt9enable_ifIXsr10test_utilsE35device_test_enabled_for_warp_size_vIXT1_EEEvE4typeEPT_S4_i: ; @_Z24warp_reduce_valid_kernelIiLj64ELj1EENSt9enable_ifIXsr10test_utilsE35device_test_enabled_for_warp_size_vIXT1_EEEvE4typeEPT_S4_i
; %bb.0:
	s_clause 0x1
	s_load_b32 s4, s[0:1], 0x24
	s_load_b128 s[0:3], s[0:1], 0x0
	s_waitcnt lgkmcnt(0)
	s_and_b32 s4, s4, 0xffff
	s_delay_alu instid0(SALU_CYCLE_1) | instskip(SKIP_1) | instid1(VALU_DEP_1)
	v_mad_u64_u32 v[1:2], null, s15, s4, v[0:1]
	v_mov_b32_e32 v2, 0
	v_lshlrev_b64 v[0:1], 2, v[1:2]
	s_delay_alu instid0(VALU_DEP_1) | instskip(NEXT) | instid1(VALU_DEP_2)
	v_add_co_u32 v2, vcc_lo, s0, v0
	v_add_co_ci_u32_e32 v3, vcc_lo, s1, v1, vcc_lo
	v_add_co_u32 v0, vcc_lo, s2, v0
	v_add_co_ci_u32_e32 v1, vcc_lo, s3, v1, vcc_lo
	global_load_b32 v2, v[2:3], off
	s_waitcnt vmcnt(0)
	global_store_b32 v[0:1], v2, off
	s_nop 0
	s_sendmsg sendmsg(MSG_DEALLOC_VGPRS)
	s_endpgm
	.section	.rodata,"a",@progbits
	.p2align	6, 0x0
	.amdhsa_kernel _Z24warp_reduce_valid_kernelIiLj64ELj1EENSt9enable_ifIXsr10test_utilsE35device_test_enabled_for_warp_size_vIXT1_EEEvE4typeEPT_S4_i
		.amdhsa_group_segment_fixed_size 0
		.amdhsa_private_segment_fixed_size 0
		.amdhsa_kernarg_size 280
		.amdhsa_user_sgpr_count 15
		.amdhsa_user_sgpr_dispatch_ptr 0
		.amdhsa_user_sgpr_queue_ptr 0
		.amdhsa_user_sgpr_kernarg_segment_ptr 1
		.amdhsa_user_sgpr_dispatch_id 0
		.amdhsa_user_sgpr_private_segment_size 0
		.amdhsa_wavefront_size32 1
		.amdhsa_uses_dynamic_stack 0
		.amdhsa_enable_private_segment 0
		.amdhsa_system_sgpr_workgroup_id_x 1
		.amdhsa_system_sgpr_workgroup_id_y 0
		.amdhsa_system_sgpr_workgroup_id_z 0
		.amdhsa_system_sgpr_workgroup_info 0
		.amdhsa_system_vgpr_workitem_id 0
		.amdhsa_next_free_vgpr 4
		.amdhsa_next_free_sgpr 16
		.amdhsa_reserve_vcc 1
		.amdhsa_float_round_mode_32 0
		.amdhsa_float_round_mode_16_64 0
		.amdhsa_float_denorm_mode_32 3
		.amdhsa_float_denorm_mode_16_64 3
		.amdhsa_dx10_clamp 1
		.amdhsa_ieee_mode 1
		.amdhsa_fp16_overflow 0
		.amdhsa_workgroup_processor_mode 1
		.amdhsa_memory_ordered 1
		.amdhsa_forward_progress 0
		.amdhsa_shared_vgpr_count 0
		.amdhsa_exception_fp_ieee_invalid_op 0
		.amdhsa_exception_fp_denorm_src 0
		.amdhsa_exception_fp_ieee_div_zero 0
		.amdhsa_exception_fp_ieee_overflow 0
		.amdhsa_exception_fp_ieee_underflow 0
		.amdhsa_exception_fp_ieee_inexact 0
		.amdhsa_exception_int_div_zero 0
	.end_amdhsa_kernel
	.section	.text._Z24warp_reduce_valid_kernelIiLj64ELj1EENSt9enable_ifIXsr10test_utilsE35device_test_enabled_for_warp_size_vIXT1_EEEvE4typeEPT_S4_i,"axG",@progbits,_Z24warp_reduce_valid_kernelIiLj64ELj1EENSt9enable_ifIXsr10test_utilsE35device_test_enabled_for_warp_size_vIXT1_EEEvE4typeEPT_S4_i,comdat
.Lfunc_end127:
	.size	_Z24warp_reduce_valid_kernelIiLj64ELj1EENSt9enable_ifIXsr10test_utilsE35device_test_enabled_for_warp_size_vIXT1_EEEvE4typeEPT_S4_i, .Lfunc_end127-_Z24warp_reduce_valid_kernelIiLj64ELj1EENSt9enable_ifIXsr10test_utilsE35device_test_enabled_for_warp_size_vIXT1_EEEvE4typeEPT_S4_i
                                        ; -- End function
	.section	.AMDGPU.csdata,"",@progbits
; Kernel info:
; codeLenInByte = 116
; NumSgprs: 18
; NumVgprs: 4
; ScratchSize: 0
; MemoryBound: 0
; FloatMode: 240
; IeeeMode: 1
; LDSByteSize: 0 bytes/workgroup (compile time only)
; SGPRBlocks: 2
; VGPRBlocks: 0
; NumSGPRsForWavesPerEU: 18
; NumVGPRsForWavesPerEU: 4
; Occupancy: 16
; WaveLimiterHint : 0
; COMPUTE_PGM_RSRC2:SCRATCH_EN: 0
; COMPUTE_PGM_RSRC2:USER_SGPR: 15
; COMPUTE_PGM_RSRC2:TRAP_HANDLER: 0
; COMPUTE_PGM_RSRC2:TGID_X_EN: 1
; COMPUTE_PGM_RSRC2:TGID_Y_EN: 0
; COMPUTE_PGM_RSRC2:TGID_Z_EN: 0
; COMPUTE_PGM_RSRC2:TIDIG_COMP_CNT: 0
	.section	.text._Z33head_segmented_warp_reduce_kernelIfhLj1ELj61EENSt9enable_ifIXntsr10test_utilsE35device_test_enabled_for_warp_size_vIXT2_EEEvE4typeEPT_PT0_S4_,"axG",@progbits,_Z33head_segmented_warp_reduce_kernelIfhLj1ELj61EENSt9enable_ifIXntsr10test_utilsE35device_test_enabled_for_warp_size_vIXT2_EEEvE4typeEPT_PT0_S4_,comdat
	.protected	_Z33head_segmented_warp_reduce_kernelIfhLj1ELj61EENSt9enable_ifIXntsr10test_utilsE35device_test_enabled_for_warp_size_vIXT2_EEEvE4typeEPT_PT0_S4_ ; -- Begin function _Z33head_segmented_warp_reduce_kernelIfhLj1ELj61EENSt9enable_ifIXntsr10test_utilsE35device_test_enabled_for_warp_size_vIXT2_EEEvE4typeEPT_PT0_S4_
	.globl	_Z33head_segmented_warp_reduce_kernelIfhLj1ELj61EENSt9enable_ifIXntsr10test_utilsE35device_test_enabled_for_warp_size_vIXT2_EEEvE4typeEPT_PT0_S4_
	.p2align	8
	.type	_Z33head_segmented_warp_reduce_kernelIfhLj1ELj61EENSt9enable_ifIXntsr10test_utilsE35device_test_enabled_for_warp_size_vIXT2_EEEvE4typeEPT_PT0_S4_,@function
_Z33head_segmented_warp_reduce_kernelIfhLj1ELj61EENSt9enable_ifIXntsr10test_utilsE35device_test_enabled_for_warp_size_vIXT2_EEEvE4typeEPT_PT0_S4_: ; @_Z33head_segmented_warp_reduce_kernelIfhLj1ELj61EENSt9enable_ifIXntsr10test_utilsE35device_test_enabled_for_warp_size_vIXT2_EEEvE4typeEPT_PT0_S4_
; %bb.0:
	s_endpgm
	.section	.rodata,"a",@progbits
	.p2align	6, 0x0
	.amdhsa_kernel _Z33head_segmented_warp_reduce_kernelIfhLj1ELj61EENSt9enable_ifIXntsr10test_utilsE35device_test_enabled_for_warp_size_vIXT2_EEEvE4typeEPT_PT0_S4_
		.amdhsa_group_segment_fixed_size 0
		.amdhsa_private_segment_fixed_size 0
		.amdhsa_kernarg_size 24
		.amdhsa_user_sgpr_count 15
		.amdhsa_user_sgpr_dispatch_ptr 0
		.amdhsa_user_sgpr_queue_ptr 0
		.amdhsa_user_sgpr_kernarg_segment_ptr 1
		.amdhsa_user_sgpr_dispatch_id 0
		.amdhsa_user_sgpr_private_segment_size 0
		.amdhsa_wavefront_size32 1
		.amdhsa_uses_dynamic_stack 0
		.amdhsa_enable_private_segment 0
		.amdhsa_system_sgpr_workgroup_id_x 1
		.amdhsa_system_sgpr_workgroup_id_y 0
		.amdhsa_system_sgpr_workgroup_id_z 0
		.amdhsa_system_sgpr_workgroup_info 0
		.amdhsa_system_vgpr_workitem_id 0
		.amdhsa_next_free_vgpr 1
		.amdhsa_next_free_sgpr 1
		.amdhsa_reserve_vcc 0
		.amdhsa_float_round_mode_32 0
		.amdhsa_float_round_mode_16_64 0
		.amdhsa_float_denorm_mode_32 3
		.amdhsa_float_denorm_mode_16_64 3
		.amdhsa_dx10_clamp 1
		.amdhsa_ieee_mode 1
		.amdhsa_fp16_overflow 0
		.amdhsa_workgroup_processor_mode 1
		.amdhsa_memory_ordered 1
		.amdhsa_forward_progress 0
		.amdhsa_shared_vgpr_count 0
		.amdhsa_exception_fp_ieee_invalid_op 0
		.amdhsa_exception_fp_denorm_src 0
		.amdhsa_exception_fp_ieee_div_zero 0
		.amdhsa_exception_fp_ieee_overflow 0
		.amdhsa_exception_fp_ieee_underflow 0
		.amdhsa_exception_fp_ieee_inexact 0
		.amdhsa_exception_int_div_zero 0
	.end_amdhsa_kernel
	.section	.text._Z33head_segmented_warp_reduce_kernelIfhLj1ELj61EENSt9enable_ifIXntsr10test_utilsE35device_test_enabled_for_warp_size_vIXT2_EEEvE4typeEPT_PT0_S4_,"axG",@progbits,_Z33head_segmented_warp_reduce_kernelIfhLj1ELj61EENSt9enable_ifIXntsr10test_utilsE35device_test_enabled_for_warp_size_vIXT2_EEEvE4typeEPT_PT0_S4_,comdat
.Lfunc_end128:
	.size	_Z33head_segmented_warp_reduce_kernelIfhLj1ELj61EENSt9enable_ifIXntsr10test_utilsE35device_test_enabled_for_warp_size_vIXT2_EEEvE4typeEPT_PT0_S4_, .Lfunc_end128-_Z33head_segmented_warp_reduce_kernelIfhLj1ELj61EENSt9enable_ifIXntsr10test_utilsE35device_test_enabled_for_warp_size_vIXT2_EEEvE4typeEPT_PT0_S4_
                                        ; -- End function
	.section	.AMDGPU.csdata,"",@progbits
; Kernel info:
; codeLenInByte = 4
; NumSgprs: 0
; NumVgprs: 0
; ScratchSize: 0
; MemoryBound: 0
; FloatMode: 240
; IeeeMode: 1
; LDSByteSize: 0 bytes/workgroup (compile time only)
; SGPRBlocks: 0
; VGPRBlocks: 0
; NumSGPRsForWavesPerEU: 1
; NumVGPRsForWavesPerEU: 1
; Occupancy: 16
; WaveLimiterHint : 0
; COMPUTE_PGM_RSRC2:SCRATCH_EN: 0
; COMPUTE_PGM_RSRC2:USER_SGPR: 15
; COMPUTE_PGM_RSRC2:TRAP_HANDLER: 0
; COMPUTE_PGM_RSRC2:TGID_X_EN: 1
; COMPUTE_PGM_RSRC2:TGID_Y_EN: 0
; COMPUTE_PGM_RSRC2:TGID_Z_EN: 0
; COMPUTE_PGM_RSRC2:TIDIG_COMP_CNT: 0
	.section	.text._Z33head_segmented_warp_reduce_kernelIfhLj61ELj61EENSt9enable_ifIXntsr10test_utilsE35device_test_enabled_for_warp_size_vIXT2_EEEvE4typeEPT_PT0_S4_,"axG",@progbits,_Z33head_segmented_warp_reduce_kernelIfhLj61ELj61EENSt9enable_ifIXntsr10test_utilsE35device_test_enabled_for_warp_size_vIXT2_EEEvE4typeEPT_PT0_S4_,comdat
	.protected	_Z33head_segmented_warp_reduce_kernelIfhLj61ELj61EENSt9enable_ifIXntsr10test_utilsE35device_test_enabled_for_warp_size_vIXT2_EEEvE4typeEPT_PT0_S4_ ; -- Begin function _Z33head_segmented_warp_reduce_kernelIfhLj61ELj61EENSt9enable_ifIXntsr10test_utilsE35device_test_enabled_for_warp_size_vIXT2_EEEvE4typeEPT_PT0_S4_
	.globl	_Z33head_segmented_warp_reduce_kernelIfhLj61ELj61EENSt9enable_ifIXntsr10test_utilsE35device_test_enabled_for_warp_size_vIXT2_EEEvE4typeEPT_PT0_S4_
	.p2align	8
	.type	_Z33head_segmented_warp_reduce_kernelIfhLj61ELj61EENSt9enable_ifIXntsr10test_utilsE35device_test_enabled_for_warp_size_vIXT2_EEEvE4typeEPT_PT0_S4_,@function
_Z33head_segmented_warp_reduce_kernelIfhLj61ELj61EENSt9enable_ifIXntsr10test_utilsE35device_test_enabled_for_warp_size_vIXT2_EEEvE4typeEPT_PT0_S4_: ; @_Z33head_segmented_warp_reduce_kernelIfhLj61ELj61EENSt9enable_ifIXntsr10test_utilsE35device_test_enabled_for_warp_size_vIXT2_EEEvE4typeEPT_PT0_S4_
; %bb.0:
	s_endpgm
	.section	.rodata,"a",@progbits
	.p2align	6, 0x0
	.amdhsa_kernel _Z33head_segmented_warp_reduce_kernelIfhLj61ELj61EENSt9enable_ifIXntsr10test_utilsE35device_test_enabled_for_warp_size_vIXT2_EEEvE4typeEPT_PT0_S4_
		.amdhsa_group_segment_fixed_size 0
		.amdhsa_private_segment_fixed_size 0
		.amdhsa_kernarg_size 24
		.amdhsa_user_sgpr_count 15
		.amdhsa_user_sgpr_dispatch_ptr 0
		.amdhsa_user_sgpr_queue_ptr 0
		.amdhsa_user_sgpr_kernarg_segment_ptr 1
		.amdhsa_user_sgpr_dispatch_id 0
		.amdhsa_user_sgpr_private_segment_size 0
		.amdhsa_wavefront_size32 1
		.amdhsa_uses_dynamic_stack 0
		.amdhsa_enable_private_segment 0
		.amdhsa_system_sgpr_workgroup_id_x 1
		.amdhsa_system_sgpr_workgroup_id_y 0
		.amdhsa_system_sgpr_workgroup_id_z 0
		.amdhsa_system_sgpr_workgroup_info 0
		.amdhsa_system_vgpr_workitem_id 0
		.amdhsa_next_free_vgpr 1
		.amdhsa_next_free_sgpr 1
		.amdhsa_reserve_vcc 0
		.amdhsa_float_round_mode_32 0
		.amdhsa_float_round_mode_16_64 0
		.amdhsa_float_denorm_mode_32 3
		.amdhsa_float_denorm_mode_16_64 3
		.amdhsa_dx10_clamp 1
		.amdhsa_ieee_mode 1
		.amdhsa_fp16_overflow 0
		.amdhsa_workgroup_processor_mode 1
		.amdhsa_memory_ordered 1
		.amdhsa_forward_progress 0
		.amdhsa_shared_vgpr_count 0
		.amdhsa_exception_fp_ieee_invalid_op 0
		.amdhsa_exception_fp_denorm_src 0
		.amdhsa_exception_fp_ieee_div_zero 0
		.amdhsa_exception_fp_ieee_overflow 0
		.amdhsa_exception_fp_ieee_underflow 0
		.amdhsa_exception_fp_ieee_inexact 0
		.amdhsa_exception_int_div_zero 0
	.end_amdhsa_kernel
	.section	.text._Z33head_segmented_warp_reduce_kernelIfhLj61ELj61EENSt9enable_ifIXntsr10test_utilsE35device_test_enabled_for_warp_size_vIXT2_EEEvE4typeEPT_PT0_S4_,"axG",@progbits,_Z33head_segmented_warp_reduce_kernelIfhLj61ELj61EENSt9enable_ifIXntsr10test_utilsE35device_test_enabled_for_warp_size_vIXT2_EEEvE4typeEPT_PT0_S4_,comdat
.Lfunc_end129:
	.size	_Z33head_segmented_warp_reduce_kernelIfhLj61ELj61EENSt9enable_ifIXntsr10test_utilsE35device_test_enabled_for_warp_size_vIXT2_EEEvE4typeEPT_PT0_S4_, .Lfunc_end129-_Z33head_segmented_warp_reduce_kernelIfhLj61ELj61EENSt9enable_ifIXntsr10test_utilsE35device_test_enabled_for_warp_size_vIXT2_EEEvE4typeEPT_PT0_S4_
                                        ; -- End function
	.section	.AMDGPU.csdata,"",@progbits
; Kernel info:
; codeLenInByte = 4
; NumSgprs: 0
; NumVgprs: 0
; ScratchSize: 0
; MemoryBound: 0
; FloatMode: 240
; IeeeMode: 1
; LDSByteSize: 0 bytes/workgroup (compile time only)
; SGPRBlocks: 0
; VGPRBlocks: 0
; NumSGPRsForWavesPerEU: 1
; NumVGPRsForWavesPerEU: 1
; Occupancy: 16
; WaveLimiterHint : 0
; COMPUTE_PGM_RSRC2:SCRATCH_EN: 0
; COMPUTE_PGM_RSRC2:USER_SGPR: 15
; COMPUTE_PGM_RSRC2:TRAP_HANDLER: 0
; COMPUTE_PGM_RSRC2:TGID_X_EN: 1
; COMPUTE_PGM_RSRC2:TGID_Y_EN: 0
; COMPUTE_PGM_RSRC2:TGID_Z_EN: 0
; COMPUTE_PGM_RSRC2:TIDIG_COMP_CNT: 0
	.section	.text._Z33head_segmented_warp_reduce_kernelIfhLj1ELj37EENSt9enable_ifIXntsr10test_utilsE35device_test_enabled_for_warp_size_vIXT2_EEEvE4typeEPT_PT0_S4_,"axG",@progbits,_Z33head_segmented_warp_reduce_kernelIfhLj1ELj37EENSt9enable_ifIXntsr10test_utilsE35device_test_enabled_for_warp_size_vIXT2_EEEvE4typeEPT_PT0_S4_,comdat
	.protected	_Z33head_segmented_warp_reduce_kernelIfhLj1ELj37EENSt9enable_ifIXntsr10test_utilsE35device_test_enabled_for_warp_size_vIXT2_EEEvE4typeEPT_PT0_S4_ ; -- Begin function _Z33head_segmented_warp_reduce_kernelIfhLj1ELj37EENSt9enable_ifIXntsr10test_utilsE35device_test_enabled_for_warp_size_vIXT2_EEEvE4typeEPT_PT0_S4_
	.globl	_Z33head_segmented_warp_reduce_kernelIfhLj1ELj37EENSt9enable_ifIXntsr10test_utilsE35device_test_enabled_for_warp_size_vIXT2_EEEvE4typeEPT_PT0_S4_
	.p2align	8
	.type	_Z33head_segmented_warp_reduce_kernelIfhLj1ELj37EENSt9enable_ifIXntsr10test_utilsE35device_test_enabled_for_warp_size_vIXT2_EEEvE4typeEPT_PT0_S4_,@function
_Z33head_segmented_warp_reduce_kernelIfhLj1ELj37EENSt9enable_ifIXntsr10test_utilsE35device_test_enabled_for_warp_size_vIXT2_EEEvE4typeEPT_PT0_S4_: ; @_Z33head_segmented_warp_reduce_kernelIfhLj1ELj37EENSt9enable_ifIXntsr10test_utilsE35device_test_enabled_for_warp_size_vIXT2_EEEvE4typeEPT_PT0_S4_
; %bb.0:
	s_endpgm
	.section	.rodata,"a",@progbits
	.p2align	6, 0x0
	.amdhsa_kernel _Z33head_segmented_warp_reduce_kernelIfhLj1ELj37EENSt9enable_ifIXntsr10test_utilsE35device_test_enabled_for_warp_size_vIXT2_EEEvE4typeEPT_PT0_S4_
		.amdhsa_group_segment_fixed_size 0
		.amdhsa_private_segment_fixed_size 0
		.amdhsa_kernarg_size 24
		.amdhsa_user_sgpr_count 15
		.amdhsa_user_sgpr_dispatch_ptr 0
		.amdhsa_user_sgpr_queue_ptr 0
		.amdhsa_user_sgpr_kernarg_segment_ptr 1
		.amdhsa_user_sgpr_dispatch_id 0
		.amdhsa_user_sgpr_private_segment_size 0
		.amdhsa_wavefront_size32 1
		.amdhsa_uses_dynamic_stack 0
		.amdhsa_enable_private_segment 0
		.amdhsa_system_sgpr_workgroup_id_x 1
		.amdhsa_system_sgpr_workgroup_id_y 0
		.amdhsa_system_sgpr_workgroup_id_z 0
		.amdhsa_system_sgpr_workgroup_info 0
		.amdhsa_system_vgpr_workitem_id 0
		.amdhsa_next_free_vgpr 1
		.amdhsa_next_free_sgpr 1
		.amdhsa_reserve_vcc 0
		.amdhsa_float_round_mode_32 0
		.amdhsa_float_round_mode_16_64 0
		.amdhsa_float_denorm_mode_32 3
		.amdhsa_float_denorm_mode_16_64 3
		.amdhsa_dx10_clamp 1
		.amdhsa_ieee_mode 1
		.amdhsa_fp16_overflow 0
		.amdhsa_workgroup_processor_mode 1
		.amdhsa_memory_ordered 1
		.amdhsa_forward_progress 0
		.amdhsa_shared_vgpr_count 0
		.amdhsa_exception_fp_ieee_invalid_op 0
		.amdhsa_exception_fp_denorm_src 0
		.amdhsa_exception_fp_ieee_div_zero 0
		.amdhsa_exception_fp_ieee_overflow 0
		.amdhsa_exception_fp_ieee_underflow 0
		.amdhsa_exception_fp_ieee_inexact 0
		.amdhsa_exception_int_div_zero 0
	.end_amdhsa_kernel
	.section	.text._Z33head_segmented_warp_reduce_kernelIfhLj1ELj37EENSt9enable_ifIXntsr10test_utilsE35device_test_enabled_for_warp_size_vIXT2_EEEvE4typeEPT_PT0_S4_,"axG",@progbits,_Z33head_segmented_warp_reduce_kernelIfhLj1ELj37EENSt9enable_ifIXntsr10test_utilsE35device_test_enabled_for_warp_size_vIXT2_EEEvE4typeEPT_PT0_S4_,comdat
.Lfunc_end130:
	.size	_Z33head_segmented_warp_reduce_kernelIfhLj1ELj37EENSt9enable_ifIXntsr10test_utilsE35device_test_enabled_for_warp_size_vIXT2_EEEvE4typeEPT_PT0_S4_, .Lfunc_end130-_Z33head_segmented_warp_reduce_kernelIfhLj1ELj37EENSt9enable_ifIXntsr10test_utilsE35device_test_enabled_for_warp_size_vIXT2_EEEvE4typeEPT_PT0_S4_
                                        ; -- End function
	.section	.AMDGPU.csdata,"",@progbits
; Kernel info:
; codeLenInByte = 4
; NumSgprs: 0
; NumVgprs: 0
; ScratchSize: 0
; MemoryBound: 0
; FloatMode: 240
; IeeeMode: 1
; LDSByteSize: 0 bytes/workgroup (compile time only)
; SGPRBlocks: 0
; VGPRBlocks: 0
; NumSGPRsForWavesPerEU: 1
; NumVGPRsForWavesPerEU: 1
; Occupancy: 16
; WaveLimiterHint : 0
; COMPUTE_PGM_RSRC2:SCRATCH_EN: 0
; COMPUTE_PGM_RSRC2:USER_SGPR: 15
; COMPUTE_PGM_RSRC2:TRAP_HANDLER: 0
; COMPUTE_PGM_RSRC2:TGID_X_EN: 1
; COMPUTE_PGM_RSRC2:TGID_Y_EN: 0
; COMPUTE_PGM_RSRC2:TGID_Z_EN: 0
; COMPUTE_PGM_RSRC2:TIDIG_COMP_CNT: 0
	.section	.text._Z33head_segmented_warp_reduce_kernelIfhLj37ELj37EENSt9enable_ifIXntsr10test_utilsE35device_test_enabled_for_warp_size_vIXT2_EEEvE4typeEPT_PT0_S4_,"axG",@progbits,_Z33head_segmented_warp_reduce_kernelIfhLj37ELj37EENSt9enable_ifIXntsr10test_utilsE35device_test_enabled_for_warp_size_vIXT2_EEEvE4typeEPT_PT0_S4_,comdat
	.protected	_Z33head_segmented_warp_reduce_kernelIfhLj37ELj37EENSt9enable_ifIXntsr10test_utilsE35device_test_enabled_for_warp_size_vIXT2_EEEvE4typeEPT_PT0_S4_ ; -- Begin function _Z33head_segmented_warp_reduce_kernelIfhLj37ELj37EENSt9enable_ifIXntsr10test_utilsE35device_test_enabled_for_warp_size_vIXT2_EEEvE4typeEPT_PT0_S4_
	.globl	_Z33head_segmented_warp_reduce_kernelIfhLj37ELj37EENSt9enable_ifIXntsr10test_utilsE35device_test_enabled_for_warp_size_vIXT2_EEEvE4typeEPT_PT0_S4_
	.p2align	8
	.type	_Z33head_segmented_warp_reduce_kernelIfhLj37ELj37EENSt9enable_ifIXntsr10test_utilsE35device_test_enabled_for_warp_size_vIXT2_EEEvE4typeEPT_PT0_S4_,@function
_Z33head_segmented_warp_reduce_kernelIfhLj37ELj37EENSt9enable_ifIXntsr10test_utilsE35device_test_enabled_for_warp_size_vIXT2_EEEvE4typeEPT_PT0_S4_: ; @_Z33head_segmented_warp_reduce_kernelIfhLj37ELj37EENSt9enable_ifIXntsr10test_utilsE35device_test_enabled_for_warp_size_vIXT2_EEEvE4typeEPT_PT0_S4_
; %bb.0:
	s_endpgm
	.section	.rodata,"a",@progbits
	.p2align	6, 0x0
	.amdhsa_kernel _Z33head_segmented_warp_reduce_kernelIfhLj37ELj37EENSt9enable_ifIXntsr10test_utilsE35device_test_enabled_for_warp_size_vIXT2_EEEvE4typeEPT_PT0_S4_
		.amdhsa_group_segment_fixed_size 0
		.amdhsa_private_segment_fixed_size 0
		.amdhsa_kernarg_size 24
		.amdhsa_user_sgpr_count 15
		.amdhsa_user_sgpr_dispatch_ptr 0
		.amdhsa_user_sgpr_queue_ptr 0
		.amdhsa_user_sgpr_kernarg_segment_ptr 1
		.amdhsa_user_sgpr_dispatch_id 0
		.amdhsa_user_sgpr_private_segment_size 0
		.amdhsa_wavefront_size32 1
		.amdhsa_uses_dynamic_stack 0
		.amdhsa_enable_private_segment 0
		.amdhsa_system_sgpr_workgroup_id_x 1
		.amdhsa_system_sgpr_workgroup_id_y 0
		.amdhsa_system_sgpr_workgroup_id_z 0
		.amdhsa_system_sgpr_workgroup_info 0
		.amdhsa_system_vgpr_workitem_id 0
		.amdhsa_next_free_vgpr 1
		.amdhsa_next_free_sgpr 1
		.amdhsa_reserve_vcc 0
		.amdhsa_float_round_mode_32 0
		.amdhsa_float_round_mode_16_64 0
		.amdhsa_float_denorm_mode_32 3
		.amdhsa_float_denorm_mode_16_64 3
		.amdhsa_dx10_clamp 1
		.amdhsa_ieee_mode 1
		.amdhsa_fp16_overflow 0
		.amdhsa_workgroup_processor_mode 1
		.amdhsa_memory_ordered 1
		.amdhsa_forward_progress 0
		.amdhsa_shared_vgpr_count 0
		.amdhsa_exception_fp_ieee_invalid_op 0
		.amdhsa_exception_fp_denorm_src 0
		.amdhsa_exception_fp_ieee_div_zero 0
		.amdhsa_exception_fp_ieee_overflow 0
		.amdhsa_exception_fp_ieee_underflow 0
		.amdhsa_exception_fp_ieee_inexact 0
		.amdhsa_exception_int_div_zero 0
	.end_amdhsa_kernel
	.section	.text._Z33head_segmented_warp_reduce_kernelIfhLj37ELj37EENSt9enable_ifIXntsr10test_utilsE35device_test_enabled_for_warp_size_vIXT2_EEEvE4typeEPT_PT0_S4_,"axG",@progbits,_Z33head_segmented_warp_reduce_kernelIfhLj37ELj37EENSt9enable_ifIXntsr10test_utilsE35device_test_enabled_for_warp_size_vIXT2_EEEvE4typeEPT_PT0_S4_,comdat
.Lfunc_end131:
	.size	_Z33head_segmented_warp_reduce_kernelIfhLj37ELj37EENSt9enable_ifIXntsr10test_utilsE35device_test_enabled_for_warp_size_vIXT2_EEEvE4typeEPT_PT0_S4_, .Lfunc_end131-_Z33head_segmented_warp_reduce_kernelIfhLj37ELj37EENSt9enable_ifIXntsr10test_utilsE35device_test_enabled_for_warp_size_vIXT2_EEEvE4typeEPT_PT0_S4_
                                        ; -- End function
	.section	.AMDGPU.csdata,"",@progbits
; Kernel info:
; codeLenInByte = 4
; NumSgprs: 0
; NumVgprs: 0
; ScratchSize: 0
; MemoryBound: 0
; FloatMode: 240
; IeeeMode: 1
; LDSByteSize: 0 bytes/workgroup (compile time only)
; SGPRBlocks: 0
; VGPRBlocks: 0
; NumSGPRsForWavesPerEU: 1
; NumVGPRsForWavesPerEU: 1
; Occupancy: 16
; WaveLimiterHint : 0
; COMPUTE_PGM_RSRC2:SCRATCH_EN: 0
; COMPUTE_PGM_RSRC2:USER_SGPR: 15
; COMPUTE_PGM_RSRC2:TRAP_HANDLER: 0
; COMPUTE_PGM_RSRC2:TGID_X_EN: 1
; COMPUTE_PGM_RSRC2:TGID_Y_EN: 0
; COMPUTE_PGM_RSRC2:TGID_Z_EN: 0
; COMPUTE_PGM_RSRC2:TIDIG_COMP_CNT: 0
	.section	.text._Z33head_segmented_warp_reduce_kernelIfhLj30ELj15EENSt9enable_ifIXsr10test_utilsE35device_test_enabled_for_warp_size_vIXT2_EEEvE4typeEPT_PT0_S4_,"axG",@progbits,_Z33head_segmented_warp_reduce_kernelIfhLj30ELj15EENSt9enable_ifIXsr10test_utilsE35device_test_enabled_for_warp_size_vIXT2_EEEvE4typeEPT_PT0_S4_,comdat
	.protected	_Z33head_segmented_warp_reduce_kernelIfhLj30ELj15EENSt9enable_ifIXsr10test_utilsE35device_test_enabled_for_warp_size_vIXT2_EEEvE4typeEPT_PT0_S4_ ; -- Begin function _Z33head_segmented_warp_reduce_kernelIfhLj30ELj15EENSt9enable_ifIXsr10test_utilsE35device_test_enabled_for_warp_size_vIXT2_EEEvE4typeEPT_PT0_S4_
	.globl	_Z33head_segmented_warp_reduce_kernelIfhLj30ELj15EENSt9enable_ifIXsr10test_utilsE35device_test_enabled_for_warp_size_vIXT2_EEEvE4typeEPT_PT0_S4_
	.p2align	8
	.type	_Z33head_segmented_warp_reduce_kernelIfhLj30ELj15EENSt9enable_ifIXsr10test_utilsE35device_test_enabled_for_warp_size_vIXT2_EEEvE4typeEPT_PT0_S4_,@function
_Z33head_segmented_warp_reduce_kernelIfhLj30ELj15EENSt9enable_ifIXsr10test_utilsE35device_test_enabled_for_warp_size_vIXT2_EEEvE4typeEPT_PT0_S4_: ; @_Z33head_segmented_warp_reduce_kernelIfhLj30ELj15EENSt9enable_ifIXsr10test_utilsE35device_test_enabled_for_warp_size_vIXT2_EEEvE4typeEPT_PT0_S4_
; %bb.0:
	s_clause 0x1
	s_load_b32 s2, s[0:1], 0x24
	s_load_b128 s[4:7], s[0:1], 0x0
	s_waitcnt lgkmcnt(0)
	s_and_b32 s2, s2, 0xffff
	s_delay_alu instid0(SALU_CYCLE_1) | instskip(SKIP_2) | instid1(VALU_DEP_1)
	v_mad_u64_u32 v[1:2], null, s15, s2, v[0:1]
	v_mov_b32_e32 v2, 0
	v_mul_u32_u24_e32 v0, 0x1112, v0
	v_lshrrev_b32_e32 v0, 16, v0
	global_load_u8 v5, v1, s[6:7]
	v_lshlrev_b64 v[1:2], 2, v[1:2]
	s_delay_alu instid0(VALU_DEP_1) | instskip(NEXT) | instid1(VALU_DEP_2)
	v_add_co_u32 v3, vcc_lo, s4, v1
	v_add_co_ci_u32_e32 v4, vcc_lo, s5, v2, vcc_lo
	global_load_b32 v3, v[3:4], off
	v_mbcnt_lo_u32_b32 v4, -1, 0
	s_delay_alu instid0(VALU_DEP_1) | instskip(NEXT) | instid1(VALU_DEP_1)
	v_mul_hi_u32 v6, 0x11111112, v4
	v_mul_u32_u24_e32 v6, 15, v6
	s_waitcnt vmcnt(1)
	v_cmp_ne_u16_e32 vcc_lo, 0, v5
	v_lshlrev_b32_e64 v5, v4, -1
	s_delay_alu instid0(VALU_DEP_3)
	v_sub_nc_u32_e32 v4, v4, v6
	s_lshr_b32 s2, vcc_lo, 1
	s_delay_alu instid0(VALU_DEP_2) | instid1(SALU_CYCLE_1)
	v_and_b32_e32 v5, s2, v5
	s_mov_b32 s2, exec_lo
	s_delay_alu instid0(VALU_DEP_1) | instskip(SKIP_1) | instid1(VALU_DEP_2)
	v_lshrrev_b32_e32 v5, v6, v5
	v_lshlrev_b32_e32 v6, 2, v4
	v_or_b32_e32 v5, 0x4000, v5
	s_delay_alu instid0(VALU_DEP_2) | instskip(NEXT) | instid1(VALU_DEP_2)
	v_mad_u32_u24 v0, v0, 60, v6
	v_ctz_i32_b32_e32 v5, v5
	s_waitcnt vmcnt(0)
	ds_store_b32 v0, v3
	; wave barrier
	v_cmpx_lt_u32_e64 v4, v5
	s_cbranch_execz .LBB132_2
; %bb.1:
	ds_load_b32 v6, v0 offset:4
	s_waitcnt lgkmcnt(0)
	v_add_f32_e32 v3, v3, v6
.LBB132_2:
	s_or_b32 exec_lo, exec_lo, s2
	s_load_b64 s[0:1], s[0:1], 0x10
	v_add_nc_u32_e32 v6, 2, v4
	s_mov_b32 s2, exec_lo
	; wave barrier
	ds_store_b32 v0, v3
	; wave barrier
	v_cmpx_le_u32_e64 v6, v5
	s_cbranch_execz .LBB132_4
; %bb.3:
	ds_load_b32 v6, v0 offset:8
	s_waitcnt lgkmcnt(0)
	v_add_f32_e32 v3, v3, v6
.LBB132_4:
	s_or_b32 exec_lo, exec_lo, s2
	v_add_nc_u32_e32 v6, 4, v4
	s_mov_b32 s2, exec_lo
	; wave barrier
	ds_store_b32 v0, v3
	; wave barrier
	v_cmpx_le_u32_e64 v6, v5
	s_cbranch_execz .LBB132_6
; %bb.5:
	ds_load_b32 v6, v0 offset:16
	s_waitcnt lgkmcnt(0)
	v_add_f32_e32 v3, v3, v6
.LBB132_6:
	s_or_b32 exec_lo, exec_lo, s2
	;; [unrolled: 13-line block ×3, first 2 shown]
	s_waitcnt lgkmcnt(0)
	v_add_co_u32 v0, vcc_lo, s0, v1
	v_add_co_ci_u32_e32 v1, vcc_lo, s1, v2, vcc_lo
	; wave barrier
	global_store_b32 v[0:1], v3, off
	s_nop 0
	s_sendmsg sendmsg(MSG_DEALLOC_VGPRS)
	s_endpgm
	.section	.rodata,"a",@progbits
	.p2align	6, 0x0
	.amdhsa_kernel _Z33head_segmented_warp_reduce_kernelIfhLj30ELj15EENSt9enable_ifIXsr10test_utilsE35device_test_enabled_for_warp_size_vIXT2_EEEvE4typeEPT_PT0_S4_
		.amdhsa_group_segment_fixed_size 120
		.amdhsa_private_segment_fixed_size 0
		.amdhsa_kernarg_size 280
		.amdhsa_user_sgpr_count 15
		.amdhsa_user_sgpr_dispatch_ptr 0
		.amdhsa_user_sgpr_queue_ptr 0
		.amdhsa_user_sgpr_kernarg_segment_ptr 1
		.amdhsa_user_sgpr_dispatch_id 0
		.amdhsa_user_sgpr_private_segment_size 0
		.amdhsa_wavefront_size32 1
		.amdhsa_uses_dynamic_stack 0
		.amdhsa_enable_private_segment 0
		.amdhsa_system_sgpr_workgroup_id_x 1
		.amdhsa_system_sgpr_workgroup_id_y 0
		.amdhsa_system_sgpr_workgroup_id_z 0
		.amdhsa_system_sgpr_workgroup_info 0
		.amdhsa_system_vgpr_workitem_id 0
		.amdhsa_next_free_vgpr 7
		.amdhsa_next_free_sgpr 16
		.amdhsa_reserve_vcc 1
		.amdhsa_float_round_mode_32 0
		.amdhsa_float_round_mode_16_64 0
		.amdhsa_float_denorm_mode_32 3
		.amdhsa_float_denorm_mode_16_64 3
		.amdhsa_dx10_clamp 1
		.amdhsa_ieee_mode 1
		.amdhsa_fp16_overflow 0
		.amdhsa_workgroup_processor_mode 1
		.amdhsa_memory_ordered 1
		.amdhsa_forward_progress 0
		.amdhsa_shared_vgpr_count 0
		.amdhsa_exception_fp_ieee_invalid_op 0
		.amdhsa_exception_fp_denorm_src 0
		.amdhsa_exception_fp_ieee_div_zero 0
		.amdhsa_exception_fp_ieee_overflow 0
		.amdhsa_exception_fp_ieee_underflow 0
		.amdhsa_exception_fp_ieee_inexact 0
		.amdhsa_exception_int_div_zero 0
	.end_amdhsa_kernel
	.section	.text._Z33head_segmented_warp_reduce_kernelIfhLj30ELj15EENSt9enable_ifIXsr10test_utilsE35device_test_enabled_for_warp_size_vIXT2_EEEvE4typeEPT_PT0_S4_,"axG",@progbits,_Z33head_segmented_warp_reduce_kernelIfhLj30ELj15EENSt9enable_ifIXsr10test_utilsE35device_test_enabled_for_warp_size_vIXT2_EEEvE4typeEPT_PT0_S4_,comdat
.Lfunc_end132:
	.size	_Z33head_segmented_warp_reduce_kernelIfhLj30ELj15EENSt9enable_ifIXsr10test_utilsE35device_test_enabled_for_warp_size_vIXT2_EEEvE4typeEPT_PT0_S4_, .Lfunc_end132-_Z33head_segmented_warp_reduce_kernelIfhLj30ELj15EENSt9enable_ifIXsr10test_utilsE35device_test_enabled_for_warp_size_vIXT2_EEEvE4typeEPT_PT0_S4_
                                        ; -- End function
	.section	.AMDGPU.csdata,"",@progbits
; Kernel info:
; codeLenInByte = 436
; NumSgprs: 18
; NumVgprs: 7
; ScratchSize: 0
; MemoryBound: 0
; FloatMode: 240
; IeeeMode: 1
; LDSByteSize: 120 bytes/workgroup (compile time only)
; SGPRBlocks: 2
; VGPRBlocks: 0
; NumSGPRsForWavesPerEU: 18
; NumVGPRsForWavesPerEU: 7
; Occupancy: 16
; WaveLimiterHint : 0
; COMPUTE_PGM_RSRC2:SCRATCH_EN: 0
; COMPUTE_PGM_RSRC2:USER_SGPR: 15
; COMPUTE_PGM_RSRC2:TRAP_HANDLER: 0
; COMPUTE_PGM_RSRC2:TGID_X_EN: 1
; COMPUTE_PGM_RSRC2:TGID_Y_EN: 0
; COMPUTE_PGM_RSRC2:TGID_Z_EN: 0
; COMPUTE_PGM_RSRC2:TIDIG_COMP_CNT: 0
	.section	.text._Z33head_segmented_warp_reduce_kernelIfhLj60ELj15EENSt9enable_ifIXsr10test_utilsE35device_test_enabled_for_warp_size_vIXT2_EEEvE4typeEPT_PT0_S4_,"axG",@progbits,_Z33head_segmented_warp_reduce_kernelIfhLj60ELj15EENSt9enable_ifIXsr10test_utilsE35device_test_enabled_for_warp_size_vIXT2_EEEvE4typeEPT_PT0_S4_,comdat
	.protected	_Z33head_segmented_warp_reduce_kernelIfhLj60ELj15EENSt9enable_ifIXsr10test_utilsE35device_test_enabled_for_warp_size_vIXT2_EEEvE4typeEPT_PT0_S4_ ; -- Begin function _Z33head_segmented_warp_reduce_kernelIfhLj60ELj15EENSt9enable_ifIXsr10test_utilsE35device_test_enabled_for_warp_size_vIXT2_EEEvE4typeEPT_PT0_S4_
	.globl	_Z33head_segmented_warp_reduce_kernelIfhLj60ELj15EENSt9enable_ifIXsr10test_utilsE35device_test_enabled_for_warp_size_vIXT2_EEEvE4typeEPT_PT0_S4_
	.p2align	8
	.type	_Z33head_segmented_warp_reduce_kernelIfhLj60ELj15EENSt9enable_ifIXsr10test_utilsE35device_test_enabled_for_warp_size_vIXT2_EEEvE4typeEPT_PT0_S4_,@function
_Z33head_segmented_warp_reduce_kernelIfhLj60ELj15EENSt9enable_ifIXsr10test_utilsE35device_test_enabled_for_warp_size_vIXT2_EEEvE4typeEPT_PT0_S4_: ; @_Z33head_segmented_warp_reduce_kernelIfhLj60ELj15EENSt9enable_ifIXsr10test_utilsE35device_test_enabled_for_warp_size_vIXT2_EEEvE4typeEPT_PT0_S4_
; %bb.0:
	s_clause 0x1
	s_load_b32 s2, s[0:1], 0x24
	s_load_b128 s[4:7], s[0:1], 0x0
	s_waitcnt lgkmcnt(0)
	s_and_b32 s2, s2, 0xffff
	s_delay_alu instid0(SALU_CYCLE_1) | instskip(SKIP_2) | instid1(VALU_DEP_1)
	v_mad_u64_u32 v[1:2], null, s15, s2, v[0:1]
	v_mov_b32_e32 v2, 0
	v_mul_u32_u24_e32 v0, 0x1112, v0
	v_lshrrev_b32_e32 v0, 16, v0
	global_load_u8 v5, v1, s[6:7]
	v_lshlrev_b64 v[1:2], 2, v[1:2]
	s_delay_alu instid0(VALU_DEP_1) | instskip(NEXT) | instid1(VALU_DEP_2)
	v_add_co_u32 v3, vcc_lo, s4, v1
	v_add_co_ci_u32_e32 v4, vcc_lo, s5, v2, vcc_lo
	global_load_b32 v3, v[3:4], off
	v_mbcnt_lo_u32_b32 v4, -1, 0
	s_delay_alu instid0(VALU_DEP_1) | instskip(NEXT) | instid1(VALU_DEP_1)
	v_mul_hi_u32 v6, 0x11111112, v4
	v_mul_u32_u24_e32 v6, 15, v6
	s_waitcnt vmcnt(1)
	v_cmp_ne_u16_e32 vcc_lo, 0, v5
	v_lshlrev_b32_e64 v5, v4, -1
	s_delay_alu instid0(VALU_DEP_3)
	v_sub_nc_u32_e32 v4, v4, v6
	s_lshr_b32 s2, vcc_lo, 1
	s_delay_alu instid0(VALU_DEP_2) | instid1(SALU_CYCLE_1)
	v_and_b32_e32 v5, s2, v5
	s_mov_b32 s2, exec_lo
	s_delay_alu instid0(VALU_DEP_1) | instskip(SKIP_1) | instid1(VALU_DEP_2)
	v_lshrrev_b32_e32 v5, v6, v5
	v_lshlrev_b32_e32 v6, 2, v4
	v_or_b32_e32 v5, 0x4000, v5
	s_delay_alu instid0(VALU_DEP_2) | instskip(NEXT) | instid1(VALU_DEP_2)
	v_mad_u32_u24 v0, v0, 60, v6
	v_ctz_i32_b32_e32 v5, v5
	s_waitcnt vmcnt(0)
	ds_store_b32 v0, v3
	; wave barrier
	v_cmpx_lt_u32_e64 v4, v5
	s_cbranch_execz .LBB133_2
; %bb.1:
	ds_load_b32 v6, v0 offset:4
	s_waitcnt lgkmcnt(0)
	v_add_f32_e32 v3, v3, v6
.LBB133_2:
	s_or_b32 exec_lo, exec_lo, s2
	s_load_b64 s[0:1], s[0:1], 0x10
	v_add_nc_u32_e32 v6, 2, v4
	s_mov_b32 s2, exec_lo
	; wave barrier
	ds_store_b32 v0, v3
	; wave barrier
	v_cmpx_le_u32_e64 v6, v5
	s_cbranch_execz .LBB133_4
; %bb.3:
	ds_load_b32 v6, v0 offset:8
	s_waitcnt lgkmcnt(0)
	v_add_f32_e32 v3, v3, v6
.LBB133_4:
	s_or_b32 exec_lo, exec_lo, s2
	v_add_nc_u32_e32 v6, 4, v4
	s_mov_b32 s2, exec_lo
	; wave barrier
	ds_store_b32 v0, v3
	; wave barrier
	v_cmpx_le_u32_e64 v6, v5
	s_cbranch_execz .LBB133_6
; %bb.5:
	ds_load_b32 v6, v0 offset:16
	s_waitcnt lgkmcnt(0)
	v_add_f32_e32 v3, v3, v6
.LBB133_6:
	s_or_b32 exec_lo, exec_lo, s2
	;; [unrolled: 13-line block ×3, first 2 shown]
	s_waitcnt lgkmcnt(0)
	v_add_co_u32 v0, vcc_lo, s0, v1
	v_add_co_ci_u32_e32 v1, vcc_lo, s1, v2, vcc_lo
	; wave barrier
	global_store_b32 v[0:1], v3, off
	s_nop 0
	s_sendmsg sendmsg(MSG_DEALLOC_VGPRS)
	s_endpgm
	.section	.rodata,"a",@progbits
	.p2align	6, 0x0
	.amdhsa_kernel _Z33head_segmented_warp_reduce_kernelIfhLj60ELj15EENSt9enable_ifIXsr10test_utilsE35device_test_enabled_for_warp_size_vIXT2_EEEvE4typeEPT_PT0_S4_
		.amdhsa_group_segment_fixed_size 240
		.amdhsa_private_segment_fixed_size 0
		.amdhsa_kernarg_size 280
		.amdhsa_user_sgpr_count 15
		.amdhsa_user_sgpr_dispatch_ptr 0
		.amdhsa_user_sgpr_queue_ptr 0
		.amdhsa_user_sgpr_kernarg_segment_ptr 1
		.amdhsa_user_sgpr_dispatch_id 0
		.amdhsa_user_sgpr_private_segment_size 0
		.amdhsa_wavefront_size32 1
		.amdhsa_uses_dynamic_stack 0
		.amdhsa_enable_private_segment 0
		.amdhsa_system_sgpr_workgroup_id_x 1
		.amdhsa_system_sgpr_workgroup_id_y 0
		.amdhsa_system_sgpr_workgroup_id_z 0
		.amdhsa_system_sgpr_workgroup_info 0
		.amdhsa_system_vgpr_workitem_id 0
		.amdhsa_next_free_vgpr 7
		.amdhsa_next_free_sgpr 16
		.amdhsa_reserve_vcc 1
		.amdhsa_float_round_mode_32 0
		.amdhsa_float_round_mode_16_64 0
		.amdhsa_float_denorm_mode_32 3
		.amdhsa_float_denorm_mode_16_64 3
		.amdhsa_dx10_clamp 1
		.amdhsa_ieee_mode 1
		.amdhsa_fp16_overflow 0
		.amdhsa_workgroup_processor_mode 1
		.amdhsa_memory_ordered 1
		.amdhsa_forward_progress 0
		.amdhsa_shared_vgpr_count 0
		.amdhsa_exception_fp_ieee_invalid_op 0
		.amdhsa_exception_fp_denorm_src 0
		.amdhsa_exception_fp_ieee_div_zero 0
		.amdhsa_exception_fp_ieee_overflow 0
		.amdhsa_exception_fp_ieee_underflow 0
		.amdhsa_exception_fp_ieee_inexact 0
		.amdhsa_exception_int_div_zero 0
	.end_amdhsa_kernel
	.section	.text._Z33head_segmented_warp_reduce_kernelIfhLj60ELj15EENSt9enable_ifIXsr10test_utilsE35device_test_enabled_for_warp_size_vIXT2_EEEvE4typeEPT_PT0_S4_,"axG",@progbits,_Z33head_segmented_warp_reduce_kernelIfhLj60ELj15EENSt9enable_ifIXsr10test_utilsE35device_test_enabled_for_warp_size_vIXT2_EEEvE4typeEPT_PT0_S4_,comdat
.Lfunc_end133:
	.size	_Z33head_segmented_warp_reduce_kernelIfhLj60ELj15EENSt9enable_ifIXsr10test_utilsE35device_test_enabled_for_warp_size_vIXT2_EEEvE4typeEPT_PT0_S4_, .Lfunc_end133-_Z33head_segmented_warp_reduce_kernelIfhLj60ELj15EENSt9enable_ifIXsr10test_utilsE35device_test_enabled_for_warp_size_vIXT2_EEEvE4typeEPT_PT0_S4_
                                        ; -- End function
	.section	.AMDGPU.csdata,"",@progbits
; Kernel info:
; codeLenInByte = 436
; NumSgprs: 18
; NumVgprs: 7
; ScratchSize: 0
; MemoryBound: 0
; FloatMode: 240
; IeeeMode: 1
; LDSByteSize: 240 bytes/workgroup (compile time only)
; SGPRBlocks: 2
; VGPRBlocks: 0
; NumSGPRsForWavesPerEU: 18
; NumVGPRsForWavesPerEU: 7
; Occupancy: 16
; WaveLimiterHint : 0
; COMPUTE_PGM_RSRC2:SCRATCH_EN: 0
; COMPUTE_PGM_RSRC2:USER_SGPR: 15
; COMPUTE_PGM_RSRC2:TRAP_HANDLER: 0
; COMPUTE_PGM_RSRC2:TGID_X_EN: 1
; COMPUTE_PGM_RSRC2:TGID_Y_EN: 0
; COMPUTE_PGM_RSRC2:TGID_Z_EN: 0
; COMPUTE_PGM_RSRC2:TIDIG_COMP_CNT: 0
	.section	.text._Z33head_segmented_warp_reduce_kernelIfhLj28ELj7EENSt9enable_ifIXsr10test_utilsE35device_test_enabled_for_warp_size_vIXT2_EEEvE4typeEPT_PT0_S4_,"axG",@progbits,_Z33head_segmented_warp_reduce_kernelIfhLj28ELj7EENSt9enable_ifIXsr10test_utilsE35device_test_enabled_for_warp_size_vIXT2_EEEvE4typeEPT_PT0_S4_,comdat
	.protected	_Z33head_segmented_warp_reduce_kernelIfhLj28ELj7EENSt9enable_ifIXsr10test_utilsE35device_test_enabled_for_warp_size_vIXT2_EEEvE4typeEPT_PT0_S4_ ; -- Begin function _Z33head_segmented_warp_reduce_kernelIfhLj28ELj7EENSt9enable_ifIXsr10test_utilsE35device_test_enabled_for_warp_size_vIXT2_EEEvE4typeEPT_PT0_S4_
	.globl	_Z33head_segmented_warp_reduce_kernelIfhLj28ELj7EENSt9enable_ifIXsr10test_utilsE35device_test_enabled_for_warp_size_vIXT2_EEEvE4typeEPT_PT0_S4_
	.p2align	8
	.type	_Z33head_segmented_warp_reduce_kernelIfhLj28ELj7EENSt9enable_ifIXsr10test_utilsE35device_test_enabled_for_warp_size_vIXT2_EEEvE4typeEPT_PT0_S4_,@function
_Z33head_segmented_warp_reduce_kernelIfhLj28ELj7EENSt9enable_ifIXsr10test_utilsE35device_test_enabled_for_warp_size_vIXT2_EEEvE4typeEPT_PT0_S4_: ; @_Z33head_segmented_warp_reduce_kernelIfhLj28ELj7EENSt9enable_ifIXsr10test_utilsE35device_test_enabled_for_warp_size_vIXT2_EEEvE4typeEPT_PT0_S4_
; %bb.0:
	s_clause 0x2
	s_load_b32 s2, s[0:1], 0x24
	s_load_b128 s[4:7], s[0:1], 0x0
	s_load_b64 s[0:1], s[0:1], 0x10
	s_waitcnt lgkmcnt(0)
	s_and_b32 s2, s2, 0xffff
	s_delay_alu instid0(SALU_CYCLE_1) | instskip(SKIP_2) | instid1(VALU_DEP_1)
	v_mad_u64_u32 v[1:2], null, s15, s2, v[0:1]
	v_mov_b32_e32 v2, 0
	v_mul_u32_u24_e32 v0, 0x2493, v0
	v_lshrrev_b32_e32 v0, 16, v0
	global_load_u8 v5, v1, s[6:7]
	v_lshlrev_b64 v[1:2], 2, v[1:2]
	s_delay_alu instid0(VALU_DEP_1) | instskip(NEXT) | instid1(VALU_DEP_2)
	v_add_co_u32 v3, vcc_lo, s4, v1
	v_add_co_ci_u32_e32 v4, vcc_lo, s5, v2, vcc_lo
	global_load_b32 v3, v[3:4], off
	v_mbcnt_lo_u32_b32 v4, -1, 0
	s_delay_alu instid0(VALU_DEP_1) | instskip(NEXT) | instid1(VALU_DEP_1)
	v_mul_hi_u32 v6, 0x24924925, v4
	v_mul_u32_u24_e32 v6, 7, v6
	s_waitcnt vmcnt(1)
	v_cmp_ne_u16_e32 vcc_lo, 0, v5
	v_lshlrev_b32_e64 v5, v4, -1
	s_delay_alu instid0(VALU_DEP_3)
	v_sub_nc_u32_e32 v4, v4, v6
	s_lshr_b32 s2, vcc_lo, 1
	s_delay_alu instid0(VALU_DEP_2) | instid1(SALU_CYCLE_1)
	v_and_b32_e32 v5, s2, v5
	s_mov_b32 s2, exec_lo
	s_delay_alu instid0(VALU_DEP_1) | instskip(SKIP_1) | instid1(VALU_DEP_2)
	v_lshrrev_b32_e32 v5, v6, v5
	v_lshlrev_b32_e32 v6, 2, v4
	v_or_b32_e32 v5, 64, v5
	s_delay_alu instid0(VALU_DEP_2) | instskip(NEXT) | instid1(VALU_DEP_2)
	v_mad_u32_u24 v0, v0, 28, v6
	v_ctz_i32_b32_e32 v5, v5
	s_waitcnt vmcnt(0)
	ds_store_b32 v0, v3
	; wave barrier
	v_cmpx_lt_u32_e64 v4, v5
	s_cbranch_execz .LBB134_2
; %bb.1:
	ds_load_b32 v6, v0 offset:4
	s_waitcnt lgkmcnt(0)
	v_add_f32_e32 v3, v3, v6
.LBB134_2:
	s_or_b32 exec_lo, exec_lo, s2
	v_add_nc_u32_e32 v6, 2, v4
	s_mov_b32 s2, exec_lo
	; wave barrier
	ds_store_b32 v0, v3
	; wave barrier
	v_cmpx_le_u32_e64 v6, v5
	s_cbranch_execz .LBB134_4
; %bb.3:
	ds_load_b32 v6, v0 offset:8
	s_waitcnt lgkmcnt(0)
	v_add_f32_e32 v3, v3, v6
.LBB134_4:
	s_or_b32 exec_lo, exec_lo, s2
	v_add_nc_u32_e32 v4, 4, v4
	s_mov_b32 s2, exec_lo
	; wave barrier
	ds_store_b32 v0, v3
	; wave barrier
	v_cmpx_le_u32_e64 v4, v5
	s_cbranch_execz .LBB134_6
; %bb.5:
	ds_load_b32 v0, v0 offset:16
	s_waitcnt lgkmcnt(0)
	v_add_f32_e32 v3, v3, v0
.LBB134_6:
	s_or_b32 exec_lo, exec_lo, s2
	v_add_co_u32 v0, vcc_lo, s0, v1
	v_add_co_ci_u32_e32 v1, vcc_lo, s1, v2, vcc_lo
	; wave barrier
	global_store_b32 v[0:1], v3, off
	s_nop 0
	s_sendmsg sendmsg(MSG_DEALLOC_VGPRS)
	s_endpgm
	.section	.rodata,"a",@progbits
	.p2align	6, 0x0
	.amdhsa_kernel _Z33head_segmented_warp_reduce_kernelIfhLj28ELj7EENSt9enable_ifIXsr10test_utilsE35device_test_enabled_for_warp_size_vIXT2_EEEvE4typeEPT_PT0_S4_
		.amdhsa_group_segment_fixed_size 112
		.amdhsa_private_segment_fixed_size 0
		.amdhsa_kernarg_size 280
		.amdhsa_user_sgpr_count 15
		.amdhsa_user_sgpr_dispatch_ptr 0
		.amdhsa_user_sgpr_queue_ptr 0
		.amdhsa_user_sgpr_kernarg_segment_ptr 1
		.amdhsa_user_sgpr_dispatch_id 0
		.amdhsa_user_sgpr_private_segment_size 0
		.amdhsa_wavefront_size32 1
		.amdhsa_uses_dynamic_stack 0
		.amdhsa_enable_private_segment 0
		.amdhsa_system_sgpr_workgroup_id_x 1
		.amdhsa_system_sgpr_workgroup_id_y 0
		.amdhsa_system_sgpr_workgroup_id_z 0
		.amdhsa_system_sgpr_workgroup_info 0
		.amdhsa_system_vgpr_workitem_id 0
		.amdhsa_next_free_vgpr 7
		.amdhsa_next_free_sgpr 16
		.amdhsa_reserve_vcc 1
		.amdhsa_float_round_mode_32 0
		.amdhsa_float_round_mode_16_64 0
		.amdhsa_float_denorm_mode_32 3
		.amdhsa_float_denorm_mode_16_64 3
		.amdhsa_dx10_clamp 1
		.amdhsa_ieee_mode 1
		.amdhsa_fp16_overflow 0
		.amdhsa_workgroup_processor_mode 1
		.amdhsa_memory_ordered 1
		.amdhsa_forward_progress 0
		.amdhsa_shared_vgpr_count 0
		.amdhsa_exception_fp_ieee_invalid_op 0
		.amdhsa_exception_fp_denorm_src 0
		.amdhsa_exception_fp_ieee_div_zero 0
		.amdhsa_exception_fp_ieee_overflow 0
		.amdhsa_exception_fp_ieee_underflow 0
		.amdhsa_exception_fp_ieee_inexact 0
		.amdhsa_exception_int_div_zero 0
	.end_amdhsa_kernel
	.section	.text._Z33head_segmented_warp_reduce_kernelIfhLj28ELj7EENSt9enable_ifIXsr10test_utilsE35device_test_enabled_for_warp_size_vIXT2_EEEvE4typeEPT_PT0_S4_,"axG",@progbits,_Z33head_segmented_warp_reduce_kernelIfhLj28ELj7EENSt9enable_ifIXsr10test_utilsE35device_test_enabled_for_warp_size_vIXT2_EEEvE4typeEPT_PT0_S4_,comdat
.Lfunc_end134:
	.size	_Z33head_segmented_warp_reduce_kernelIfhLj28ELj7EENSt9enable_ifIXsr10test_utilsE35device_test_enabled_for_warp_size_vIXT2_EEEvE4typeEPT_PT0_S4_, .Lfunc_end134-_Z33head_segmented_warp_reduce_kernelIfhLj28ELj7EENSt9enable_ifIXsr10test_utilsE35device_test_enabled_for_warp_size_vIXT2_EEEvE4typeEPT_PT0_S4_
                                        ; -- End function
	.section	.AMDGPU.csdata,"",@progbits
; Kernel info:
; codeLenInByte = 380
; NumSgprs: 18
; NumVgprs: 7
; ScratchSize: 0
; MemoryBound: 0
; FloatMode: 240
; IeeeMode: 1
; LDSByteSize: 112 bytes/workgroup (compile time only)
; SGPRBlocks: 2
; VGPRBlocks: 0
; NumSGPRsForWavesPerEU: 18
; NumVGPRsForWavesPerEU: 7
; Occupancy: 16
; WaveLimiterHint : 0
; COMPUTE_PGM_RSRC2:SCRATCH_EN: 0
; COMPUTE_PGM_RSRC2:USER_SGPR: 15
; COMPUTE_PGM_RSRC2:TRAP_HANDLER: 0
; COMPUTE_PGM_RSRC2:TGID_X_EN: 1
; COMPUTE_PGM_RSRC2:TGID_Y_EN: 0
; COMPUTE_PGM_RSRC2:TGID_Z_EN: 0
; COMPUTE_PGM_RSRC2:TIDIG_COMP_CNT: 0
	.section	.text._Z33head_segmented_warp_reduce_kernelIfhLj63ELj7EENSt9enable_ifIXsr10test_utilsE35device_test_enabled_for_warp_size_vIXT2_EEEvE4typeEPT_PT0_S4_,"axG",@progbits,_Z33head_segmented_warp_reduce_kernelIfhLj63ELj7EENSt9enable_ifIXsr10test_utilsE35device_test_enabled_for_warp_size_vIXT2_EEEvE4typeEPT_PT0_S4_,comdat
	.protected	_Z33head_segmented_warp_reduce_kernelIfhLj63ELj7EENSt9enable_ifIXsr10test_utilsE35device_test_enabled_for_warp_size_vIXT2_EEEvE4typeEPT_PT0_S4_ ; -- Begin function _Z33head_segmented_warp_reduce_kernelIfhLj63ELj7EENSt9enable_ifIXsr10test_utilsE35device_test_enabled_for_warp_size_vIXT2_EEEvE4typeEPT_PT0_S4_
	.globl	_Z33head_segmented_warp_reduce_kernelIfhLj63ELj7EENSt9enable_ifIXsr10test_utilsE35device_test_enabled_for_warp_size_vIXT2_EEEvE4typeEPT_PT0_S4_
	.p2align	8
	.type	_Z33head_segmented_warp_reduce_kernelIfhLj63ELj7EENSt9enable_ifIXsr10test_utilsE35device_test_enabled_for_warp_size_vIXT2_EEEvE4typeEPT_PT0_S4_,@function
_Z33head_segmented_warp_reduce_kernelIfhLj63ELj7EENSt9enable_ifIXsr10test_utilsE35device_test_enabled_for_warp_size_vIXT2_EEEvE4typeEPT_PT0_S4_: ; @_Z33head_segmented_warp_reduce_kernelIfhLj63ELj7EENSt9enable_ifIXsr10test_utilsE35device_test_enabled_for_warp_size_vIXT2_EEEvE4typeEPT_PT0_S4_
; %bb.0:
	s_clause 0x2
	s_load_b32 s2, s[0:1], 0x24
	s_load_b128 s[4:7], s[0:1], 0x0
	s_load_b64 s[0:1], s[0:1], 0x10
	s_waitcnt lgkmcnt(0)
	s_and_b32 s2, s2, 0xffff
	s_delay_alu instid0(SALU_CYCLE_1) | instskip(SKIP_2) | instid1(VALU_DEP_1)
	v_mad_u64_u32 v[1:2], null, s15, s2, v[0:1]
	v_mov_b32_e32 v2, 0
	v_mul_u32_u24_e32 v0, 0x2493, v0
	v_lshrrev_b32_e32 v0, 16, v0
	global_load_u8 v5, v1, s[6:7]
	v_lshlrev_b64 v[1:2], 2, v[1:2]
	s_delay_alu instid0(VALU_DEP_1) | instskip(NEXT) | instid1(VALU_DEP_2)
	v_add_co_u32 v3, vcc_lo, s4, v1
	v_add_co_ci_u32_e32 v4, vcc_lo, s5, v2, vcc_lo
	global_load_b32 v3, v[3:4], off
	v_mbcnt_lo_u32_b32 v4, -1, 0
	s_delay_alu instid0(VALU_DEP_1) | instskip(NEXT) | instid1(VALU_DEP_1)
	v_mul_hi_u32 v6, 0x24924925, v4
	v_mul_u32_u24_e32 v6, 7, v6
	s_waitcnt vmcnt(1)
	v_cmp_ne_u16_e32 vcc_lo, 0, v5
	v_lshlrev_b32_e64 v5, v4, -1
	s_delay_alu instid0(VALU_DEP_3)
	v_sub_nc_u32_e32 v4, v4, v6
	s_lshr_b32 s2, vcc_lo, 1
	s_delay_alu instid0(VALU_DEP_2) | instid1(SALU_CYCLE_1)
	v_and_b32_e32 v5, s2, v5
	s_mov_b32 s2, exec_lo
	s_delay_alu instid0(VALU_DEP_1) | instskip(SKIP_1) | instid1(VALU_DEP_2)
	v_lshrrev_b32_e32 v5, v6, v5
	v_lshlrev_b32_e32 v6, 2, v4
	v_or_b32_e32 v5, 64, v5
	s_delay_alu instid0(VALU_DEP_2) | instskip(NEXT) | instid1(VALU_DEP_2)
	v_mad_u32_u24 v0, v0, 28, v6
	v_ctz_i32_b32_e32 v5, v5
	s_waitcnt vmcnt(0)
	ds_store_b32 v0, v3
	; wave barrier
	v_cmpx_lt_u32_e64 v4, v5
	s_cbranch_execz .LBB135_2
; %bb.1:
	ds_load_b32 v6, v0 offset:4
	s_waitcnt lgkmcnt(0)
	v_add_f32_e32 v3, v3, v6
.LBB135_2:
	s_or_b32 exec_lo, exec_lo, s2
	v_add_nc_u32_e32 v6, 2, v4
	s_mov_b32 s2, exec_lo
	; wave barrier
	ds_store_b32 v0, v3
	; wave barrier
	v_cmpx_le_u32_e64 v6, v5
	s_cbranch_execz .LBB135_4
; %bb.3:
	ds_load_b32 v6, v0 offset:8
	s_waitcnt lgkmcnt(0)
	v_add_f32_e32 v3, v3, v6
.LBB135_4:
	s_or_b32 exec_lo, exec_lo, s2
	v_add_nc_u32_e32 v4, 4, v4
	s_mov_b32 s2, exec_lo
	; wave barrier
	ds_store_b32 v0, v3
	; wave barrier
	v_cmpx_le_u32_e64 v4, v5
	s_cbranch_execz .LBB135_6
; %bb.5:
	ds_load_b32 v0, v0 offset:16
	s_waitcnt lgkmcnt(0)
	v_add_f32_e32 v3, v3, v0
.LBB135_6:
	s_or_b32 exec_lo, exec_lo, s2
	v_add_co_u32 v0, vcc_lo, s0, v1
	v_add_co_ci_u32_e32 v1, vcc_lo, s1, v2, vcc_lo
	; wave barrier
	global_store_b32 v[0:1], v3, off
	s_nop 0
	s_sendmsg sendmsg(MSG_DEALLOC_VGPRS)
	s_endpgm
	.section	.rodata,"a",@progbits
	.p2align	6, 0x0
	.amdhsa_kernel _Z33head_segmented_warp_reduce_kernelIfhLj63ELj7EENSt9enable_ifIXsr10test_utilsE35device_test_enabled_for_warp_size_vIXT2_EEEvE4typeEPT_PT0_S4_
		.amdhsa_group_segment_fixed_size 252
		.amdhsa_private_segment_fixed_size 0
		.amdhsa_kernarg_size 280
		.amdhsa_user_sgpr_count 15
		.amdhsa_user_sgpr_dispatch_ptr 0
		.amdhsa_user_sgpr_queue_ptr 0
		.amdhsa_user_sgpr_kernarg_segment_ptr 1
		.amdhsa_user_sgpr_dispatch_id 0
		.amdhsa_user_sgpr_private_segment_size 0
		.amdhsa_wavefront_size32 1
		.amdhsa_uses_dynamic_stack 0
		.amdhsa_enable_private_segment 0
		.amdhsa_system_sgpr_workgroup_id_x 1
		.amdhsa_system_sgpr_workgroup_id_y 0
		.amdhsa_system_sgpr_workgroup_id_z 0
		.amdhsa_system_sgpr_workgroup_info 0
		.amdhsa_system_vgpr_workitem_id 0
		.amdhsa_next_free_vgpr 7
		.amdhsa_next_free_sgpr 16
		.amdhsa_reserve_vcc 1
		.amdhsa_float_round_mode_32 0
		.amdhsa_float_round_mode_16_64 0
		.amdhsa_float_denorm_mode_32 3
		.amdhsa_float_denorm_mode_16_64 3
		.amdhsa_dx10_clamp 1
		.amdhsa_ieee_mode 1
		.amdhsa_fp16_overflow 0
		.amdhsa_workgroup_processor_mode 1
		.amdhsa_memory_ordered 1
		.amdhsa_forward_progress 0
		.amdhsa_shared_vgpr_count 0
		.amdhsa_exception_fp_ieee_invalid_op 0
		.amdhsa_exception_fp_denorm_src 0
		.amdhsa_exception_fp_ieee_div_zero 0
		.amdhsa_exception_fp_ieee_overflow 0
		.amdhsa_exception_fp_ieee_underflow 0
		.amdhsa_exception_fp_ieee_inexact 0
		.amdhsa_exception_int_div_zero 0
	.end_amdhsa_kernel
	.section	.text._Z33head_segmented_warp_reduce_kernelIfhLj63ELj7EENSt9enable_ifIXsr10test_utilsE35device_test_enabled_for_warp_size_vIXT2_EEEvE4typeEPT_PT0_S4_,"axG",@progbits,_Z33head_segmented_warp_reduce_kernelIfhLj63ELj7EENSt9enable_ifIXsr10test_utilsE35device_test_enabled_for_warp_size_vIXT2_EEEvE4typeEPT_PT0_S4_,comdat
.Lfunc_end135:
	.size	_Z33head_segmented_warp_reduce_kernelIfhLj63ELj7EENSt9enable_ifIXsr10test_utilsE35device_test_enabled_for_warp_size_vIXT2_EEEvE4typeEPT_PT0_S4_, .Lfunc_end135-_Z33head_segmented_warp_reduce_kernelIfhLj63ELj7EENSt9enable_ifIXsr10test_utilsE35device_test_enabled_for_warp_size_vIXT2_EEEvE4typeEPT_PT0_S4_
                                        ; -- End function
	.section	.AMDGPU.csdata,"",@progbits
; Kernel info:
; codeLenInByte = 380
; NumSgprs: 18
; NumVgprs: 7
; ScratchSize: 0
; MemoryBound: 0
; FloatMode: 240
; IeeeMode: 1
; LDSByteSize: 252 bytes/workgroup (compile time only)
; SGPRBlocks: 2
; VGPRBlocks: 0
; NumSGPRsForWavesPerEU: 18
; NumVGPRsForWavesPerEU: 7
; Occupancy: 16
; WaveLimiterHint : 0
; COMPUTE_PGM_RSRC2:SCRATCH_EN: 0
; COMPUTE_PGM_RSRC2:USER_SGPR: 15
; COMPUTE_PGM_RSRC2:TRAP_HANDLER: 0
; COMPUTE_PGM_RSRC2:TGID_X_EN: 1
; COMPUTE_PGM_RSRC2:TGID_Y_EN: 0
; COMPUTE_PGM_RSRC2:TGID_Z_EN: 0
; COMPUTE_PGM_RSRC2:TIDIG_COMP_CNT: 0
	.section	.text._Z33head_segmented_warp_reduce_kernelIfhLj30ELj3EENSt9enable_ifIXsr10test_utilsE35device_test_enabled_for_warp_size_vIXT2_EEEvE4typeEPT_PT0_S4_,"axG",@progbits,_Z33head_segmented_warp_reduce_kernelIfhLj30ELj3EENSt9enable_ifIXsr10test_utilsE35device_test_enabled_for_warp_size_vIXT2_EEEvE4typeEPT_PT0_S4_,comdat
	.protected	_Z33head_segmented_warp_reduce_kernelIfhLj30ELj3EENSt9enable_ifIXsr10test_utilsE35device_test_enabled_for_warp_size_vIXT2_EEEvE4typeEPT_PT0_S4_ ; -- Begin function _Z33head_segmented_warp_reduce_kernelIfhLj30ELj3EENSt9enable_ifIXsr10test_utilsE35device_test_enabled_for_warp_size_vIXT2_EEEvE4typeEPT_PT0_S4_
	.globl	_Z33head_segmented_warp_reduce_kernelIfhLj30ELj3EENSt9enable_ifIXsr10test_utilsE35device_test_enabled_for_warp_size_vIXT2_EEEvE4typeEPT_PT0_S4_
	.p2align	8
	.type	_Z33head_segmented_warp_reduce_kernelIfhLj30ELj3EENSt9enable_ifIXsr10test_utilsE35device_test_enabled_for_warp_size_vIXT2_EEEvE4typeEPT_PT0_S4_,@function
_Z33head_segmented_warp_reduce_kernelIfhLj30ELj3EENSt9enable_ifIXsr10test_utilsE35device_test_enabled_for_warp_size_vIXT2_EEEvE4typeEPT_PT0_S4_: ; @_Z33head_segmented_warp_reduce_kernelIfhLj30ELj3EENSt9enable_ifIXsr10test_utilsE35device_test_enabled_for_warp_size_vIXT2_EEEvE4typeEPT_PT0_S4_
; %bb.0:
	s_clause 0x2
	s_load_b32 s2, s[0:1], 0x24
	s_load_b128 s[4:7], s[0:1], 0x0
	s_load_b64 s[0:1], s[0:1], 0x10
	s_waitcnt lgkmcnt(0)
	s_and_b32 s2, s2, 0xffff
	s_delay_alu instid0(SALU_CYCLE_1) | instskip(SKIP_2) | instid1(VALU_DEP_1)
	v_mad_u64_u32 v[1:2], null, s15, s2, v[0:1]
	v_mov_b32_e32 v2, 0
	v_mul_u32_u24_e32 v0, 0x5556, v0
	v_lshrrev_b32_e32 v0, 16, v0
	global_load_u8 v5, v1, s[6:7]
	v_lshlrev_b64 v[1:2], 2, v[1:2]
	s_delay_alu instid0(VALU_DEP_1) | instskip(NEXT) | instid1(VALU_DEP_2)
	v_add_co_u32 v3, vcc_lo, s4, v1
	v_add_co_ci_u32_e32 v4, vcc_lo, s5, v2, vcc_lo
	global_load_b32 v3, v[3:4], off
	v_mbcnt_lo_u32_b32 v4, -1, 0
	s_delay_alu instid0(VALU_DEP_1) | instskip(NEXT) | instid1(VALU_DEP_1)
	v_mul_hi_u32 v6, 0x55555556, v4
	v_mul_u32_u24_e32 v6, 3, v6
	s_waitcnt vmcnt(1)
	v_cmp_ne_u16_e32 vcc_lo, 0, v5
	v_lshlrev_b32_e64 v5, v4, -1
	s_delay_alu instid0(VALU_DEP_3)
	v_sub_nc_u32_e32 v4, v4, v6
	s_lshr_b32 s2, vcc_lo, 1
	s_delay_alu instid0(VALU_DEP_2) | instid1(SALU_CYCLE_1)
	v_and_b32_e32 v5, s2, v5
	s_mov_b32 s2, exec_lo
	s_delay_alu instid0(VALU_DEP_1) | instskip(SKIP_1) | instid1(VALU_DEP_2)
	v_lshrrev_b32_e32 v5, v6, v5
	v_lshlrev_b32_e32 v6, 2, v4
	v_or_b32_e32 v5, 4, v5
	s_delay_alu instid0(VALU_DEP_2) | instskip(NEXT) | instid1(VALU_DEP_2)
	v_mad_u32_u24 v0, v0, 12, v6
	v_ctz_i32_b32_e32 v5, v5
	s_waitcnt vmcnt(0)
	ds_store_b32 v0, v3
	; wave barrier
	v_cmpx_lt_u32_e64 v4, v5
	s_cbranch_execz .LBB136_2
; %bb.1:
	ds_load_b32 v6, v0 offset:4
	s_waitcnt lgkmcnt(0)
	v_add_f32_e32 v3, v3, v6
.LBB136_2:
	s_or_b32 exec_lo, exec_lo, s2
	v_add_nc_u32_e32 v4, 2, v4
	s_mov_b32 s2, exec_lo
	; wave barrier
	ds_store_b32 v0, v3
	; wave barrier
	v_cmpx_le_u32_e64 v4, v5
	s_cbranch_execz .LBB136_4
; %bb.3:
	ds_load_b32 v0, v0 offset:8
	s_waitcnt lgkmcnt(0)
	v_add_f32_e32 v3, v3, v0
.LBB136_4:
	s_or_b32 exec_lo, exec_lo, s2
	v_add_co_u32 v0, vcc_lo, s0, v1
	v_add_co_ci_u32_e32 v1, vcc_lo, s1, v2, vcc_lo
	; wave barrier
	global_store_b32 v[0:1], v3, off
	s_nop 0
	s_sendmsg sendmsg(MSG_DEALLOC_VGPRS)
	s_endpgm
	.section	.rodata,"a",@progbits
	.p2align	6, 0x0
	.amdhsa_kernel _Z33head_segmented_warp_reduce_kernelIfhLj30ELj3EENSt9enable_ifIXsr10test_utilsE35device_test_enabled_for_warp_size_vIXT2_EEEvE4typeEPT_PT0_S4_
		.amdhsa_group_segment_fixed_size 120
		.amdhsa_private_segment_fixed_size 0
		.amdhsa_kernarg_size 280
		.amdhsa_user_sgpr_count 15
		.amdhsa_user_sgpr_dispatch_ptr 0
		.amdhsa_user_sgpr_queue_ptr 0
		.amdhsa_user_sgpr_kernarg_segment_ptr 1
		.amdhsa_user_sgpr_dispatch_id 0
		.amdhsa_user_sgpr_private_segment_size 0
		.amdhsa_wavefront_size32 1
		.amdhsa_uses_dynamic_stack 0
		.amdhsa_enable_private_segment 0
		.amdhsa_system_sgpr_workgroup_id_x 1
		.amdhsa_system_sgpr_workgroup_id_y 0
		.amdhsa_system_sgpr_workgroup_id_z 0
		.amdhsa_system_sgpr_workgroup_info 0
		.amdhsa_system_vgpr_workitem_id 0
		.amdhsa_next_free_vgpr 7
		.amdhsa_next_free_sgpr 16
		.amdhsa_reserve_vcc 1
		.amdhsa_float_round_mode_32 0
		.amdhsa_float_round_mode_16_64 0
		.amdhsa_float_denorm_mode_32 3
		.amdhsa_float_denorm_mode_16_64 3
		.amdhsa_dx10_clamp 1
		.amdhsa_ieee_mode 1
		.amdhsa_fp16_overflow 0
		.amdhsa_workgroup_processor_mode 1
		.amdhsa_memory_ordered 1
		.amdhsa_forward_progress 0
		.amdhsa_shared_vgpr_count 0
		.amdhsa_exception_fp_ieee_invalid_op 0
		.amdhsa_exception_fp_denorm_src 0
		.amdhsa_exception_fp_ieee_div_zero 0
		.amdhsa_exception_fp_ieee_overflow 0
		.amdhsa_exception_fp_ieee_underflow 0
		.amdhsa_exception_fp_ieee_inexact 0
		.amdhsa_exception_int_div_zero 0
	.end_amdhsa_kernel
	.section	.text._Z33head_segmented_warp_reduce_kernelIfhLj30ELj3EENSt9enable_ifIXsr10test_utilsE35device_test_enabled_for_warp_size_vIXT2_EEEvE4typeEPT_PT0_S4_,"axG",@progbits,_Z33head_segmented_warp_reduce_kernelIfhLj30ELj3EENSt9enable_ifIXsr10test_utilsE35device_test_enabled_for_warp_size_vIXT2_EEEvE4typeEPT_PT0_S4_,comdat
.Lfunc_end136:
	.size	_Z33head_segmented_warp_reduce_kernelIfhLj30ELj3EENSt9enable_ifIXsr10test_utilsE35device_test_enabled_for_warp_size_vIXT2_EEEvE4typeEPT_PT0_S4_, .Lfunc_end136-_Z33head_segmented_warp_reduce_kernelIfhLj30ELj3EENSt9enable_ifIXsr10test_utilsE35device_test_enabled_for_warp_size_vIXT2_EEEvE4typeEPT_PT0_S4_
                                        ; -- End function
	.section	.AMDGPU.csdata,"",@progbits
; Kernel info:
; codeLenInByte = 332
; NumSgprs: 18
; NumVgprs: 7
; ScratchSize: 0
; MemoryBound: 0
; FloatMode: 240
; IeeeMode: 1
; LDSByteSize: 120 bytes/workgroup (compile time only)
; SGPRBlocks: 2
; VGPRBlocks: 0
; NumSGPRsForWavesPerEU: 18
; NumVGPRsForWavesPerEU: 7
; Occupancy: 16
; WaveLimiterHint : 0
; COMPUTE_PGM_RSRC2:SCRATCH_EN: 0
; COMPUTE_PGM_RSRC2:USER_SGPR: 15
; COMPUTE_PGM_RSRC2:TRAP_HANDLER: 0
; COMPUTE_PGM_RSRC2:TGID_X_EN: 1
; COMPUTE_PGM_RSRC2:TGID_Y_EN: 0
; COMPUTE_PGM_RSRC2:TGID_Z_EN: 0
; COMPUTE_PGM_RSRC2:TIDIG_COMP_CNT: 0
	.section	.text._Z33head_segmented_warp_reduce_kernelIfhLj63ELj3EENSt9enable_ifIXsr10test_utilsE35device_test_enabled_for_warp_size_vIXT2_EEEvE4typeEPT_PT0_S4_,"axG",@progbits,_Z33head_segmented_warp_reduce_kernelIfhLj63ELj3EENSt9enable_ifIXsr10test_utilsE35device_test_enabled_for_warp_size_vIXT2_EEEvE4typeEPT_PT0_S4_,comdat
	.protected	_Z33head_segmented_warp_reduce_kernelIfhLj63ELj3EENSt9enable_ifIXsr10test_utilsE35device_test_enabled_for_warp_size_vIXT2_EEEvE4typeEPT_PT0_S4_ ; -- Begin function _Z33head_segmented_warp_reduce_kernelIfhLj63ELj3EENSt9enable_ifIXsr10test_utilsE35device_test_enabled_for_warp_size_vIXT2_EEEvE4typeEPT_PT0_S4_
	.globl	_Z33head_segmented_warp_reduce_kernelIfhLj63ELj3EENSt9enable_ifIXsr10test_utilsE35device_test_enabled_for_warp_size_vIXT2_EEEvE4typeEPT_PT0_S4_
	.p2align	8
	.type	_Z33head_segmented_warp_reduce_kernelIfhLj63ELj3EENSt9enable_ifIXsr10test_utilsE35device_test_enabled_for_warp_size_vIXT2_EEEvE4typeEPT_PT0_S4_,@function
_Z33head_segmented_warp_reduce_kernelIfhLj63ELj3EENSt9enable_ifIXsr10test_utilsE35device_test_enabled_for_warp_size_vIXT2_EEEvE4typeEPT_PT0_S4_: ; @_Z33head_segmented_warp_reduce_kernelIfhLj63ELj3EENSt9enable_ifIXsr10test_utilsE35device_test_enabled_for_warp_size_vIXT2_EEEvE4typeEPT_PT0_S4_
; %bb.0:
	s_clause 0x2
	s_load_b32 s2, s[0:1], 0x24
	s_load_b128 s[4:7], s[0:1], 0x0
	s_load_b64 s[0:1], s[0:1], 0x10
	s_waitcnt lgkmcnt(0)
	s_and_b32 s2, s2, 0xffff
	s_delay_alu instid0(SALU_CYCLE_1) | instskip(SKIP_2) | instid1(VALU_DEP_1)
	v_mad_u64_u32 v[1:2], null, s15, s2, v[0:1]
	v_mov_b32_e32 v2, 0
	v_mul_u32_u24_e32 v0, 0x5556, v0
	v_lshrrev_b32_e32 v0, 16, v0
	global_load_u8 v5, v1, s[6:7]
	v_lshlrev_b64 v[1:2], 2, v[1:2]
	s_delay_alu instid0(VALU_DEP_1) | instskip(NEXT) | instid1(VALU_DEP_2)
	v_add_co_u32 v3, vcc_lo, s4, v1
	v_add_co_ci_u32_e32 v4, vcc_lo, s5, v2, vcc_lo
	global_load_b32 v3, v[3:4], off
	v_mbcnt_lo_u32_b32 v4, -1, 0
	s_delay_alu instid0(VALU_DEP_1) | instskip(NEXT) | instid1(VALU_DEP_1)
	v_mul_hi_u32 v6, 0x55555556, v4
	v_mul_u32_u24_e32 v6, 3, v6
	s_waitcnt vmcnt(1)
	v_cmp_ne_u16_e32 vcc_lo, 0, v5
	v_lshlrev_b32_e64 v5, v4, -1
	s_delay_alu instid0(VALU_DEP_3)
	v_sub_nc_u32_e32 v4, v4, v6
	s_lshr_b32 s2, vcc_lo, 1
	s_delay_alu instid0(VALU_DEP_2) | instid1(SALU_CYCLE_1)
	v_and_b32_e32 v5, s2, v5
	s_mov_b32 s2, exec_lo
	s_delay_alu instid0(VALU_DEP_1) | instskip(SKIP_1) | instid1(VALU_DEP_2)
	v_lshrrev_b32_e32 v5, v6, v5
	v_lshlrev_b32_e32 v6, 2, v4
	v_or_b32_e32 v5, 4, v5
	s_delay_alu instid0(VALU_DEP_2) | instskip(NEXT) | instid1(VALU_DEP_2)
	v_mad_u32_u24 v0, v0, 12, v6
	v_ctz_i32_b32_e32 v5, v5
	s_waitcnt vmcnt(0)
	ds_store_b32 v0, v3
	; wave barrier
	v_cmpx_lt_u32_e64 v4, v5
	s_cbranch_execz .LBB137_2
; %bb.1:
	ds_load_b32 v6, v0 offset:4
	s_waitcnt lgkmcnt(0)
	v_add_f32_e32 v3, v3, v6
.LBB137_2:
	s_or_b32 exec_lo, exec_lo, s2
	v_add_nc_u32_e32 v4, 2, v4
	s_mov_b32 s2, exec_lo
	; wave barrier
	ds_store_b32 v0, v3
	; wave barrier
	v_cmpx_le_u32_e64 v4, v5
	s_cbranch_execz .LBB137_4
; %bb.3:
	ds_load_b32 v0, v0 offset:8
	s_waitcnt lgkmcnt(0)
	v_add_f32_e32 v3, v3, v0
.LBB137_4:
	s_or_b32 exec_lo, exec_lo, s2
	v_add_co_u32 v0, vcc_lo, s0, v1
	v_add_co_ci_u32_e32 v1, vcc_lo, s1, v2, vcc_lo
	; wave barrier
	global_store_b32 v[0:1], v3, off
	s_nop 0
	s_sendmsg sendmsg(MSG_DEALLOC_VGPRS)
	s_endpgm
	.section	.rodata,"a",@progbits
	.p2align	6, 0x0
	.amdhsa_kernel _Z33head_segmented_warp_reduce_kernelIfhLj63ELj3EENSt9enable_ifIXsr10test_utilsE35device_test_enabled_for_warp_size_vIXT2_EEEvE4typeEPT_PT0_S4_
		.amdhsa_group_segment_fixed_size 252
		.amdhsa_private_segment_fixed_size 0
		.amdhsa_kernarg_size 280
		.amdhsa_user_sgpr_count 15
		.amdhsa_user_sgpr_dispatch_ptr 0
		.amdhsa_user_sgpr_queue_ptr 0
		.amdhsa_user_sgpr_kernarg_segment_ptr 1
		.amdhsa_user_sgpr_dispatch_id 0
		.amdhsa_user_sgpr_private_segment_size 0
		.amdhsa_wavefront_size32 1
		.amdhsa_uses_dynamic_stack 0
		.amdhsa_enable_private_segment 0
		.amdhsa_system_sgpr_workgroup_id_x 1
		.amdhsa_system_sgpr_workgroup_id_y 0
		.amdhsa_system_sgpr_workgroup_id_z 0
		.amdhsa_system_sgpr_workgroup_info 0
		.amdhsa_system_vgpr_workitem_id 0
		.amdhsa_next_free_vgpr 7
		.amdhsa_next_free_sgpr 16
		.amdhsa_reserve_vcc 1
		.amdhsa_float_round_mode_32 0
		.amdhsa_float_round_mode_16_64 0
		.amdhsa_float_denorm_mode_32 3
		.amdhsa_float_denorm_mode_16_64 3
		.amdhsa_dx10_clamp 1
		.amdhsa_ieee_mode 1
		.amdhsa_fp16_overflow 0
		.amdhsa_workgroup_processor_mode 1
		.amdhsa_memory_ordered 1
		.amdhsa_forward_progress 0
		.amdhsa_shared_vgpr_count 0
		.amdhsa_exception_fp_ieee_invalid_op 0
		.amdhsa_exception_fp_denorm_src 0
		.amdhsa_exception_fp_ieee_div_zero 0
		.amdhsa_exception_fp_ieee_overflow 0
		.amdhsa_exception_fp_ieee_underflow 0
		.amdhsa_exception_fp_ieee_inexact 0
		.amdhsa_exception_int_div_zero 0
	.end_amdhsa_kernel
	.section	.text._Z33head_segmented_warp_reduce_kernelIfhLj63ELj3EENSt9enable_ifIXsr10test_utilsE35device_test_enabled_for_warp_size_vIXT2_EEEvE4typeEPT_PT0_S4_,"axG",@progbits,_Z33head_segmented_warp_reduce_kernelIfhLj63ELj3EENSt9enable_ifIXsr10test_utilsE35device_test_enabled_for_warp_size_vIXT2_EEEvE4typeEPT_PT0_S4_,comdat
.Lfunc_end137:
	.size	_Z33head_segmented_warp_reduce_kernelIfhLj63ELj3EENSt9enable_ifIXsr10test_utilsE35device_test_enabled_for_warp_size_vIXT2_EEEvE4typeEPT_PT0_S4_, .Lfunc_end137-_Z33head_segmented_warp_reduce_kernelIfhLj63ELj3EENSt9enable_ifIXsr10test_utilsE35device_test_enabled_for_warp_size_vIXT2_EEEvE4typeEPT_PT0_S4_
                                        ; -- End function
	.section	.AMDGPU.csdata,"",@progbits
; Kernel info:
; codeLenInByte = 332
; NumSgprs: 18
; NumVgprs: 7
; ScratchSize: 0
; MemoryBound: 0
; FloatMode: 240
; IeeeMode: 1
; LDSByteSize: 252 bytes/workgroup (compile time only)
; SGPRBlocks: 2
; VGPRBlocks: 0
; NumSGPRsForWavesPerEU: 18
; NumVGPRsForWavesPerEU: 7
; Occupancy: 16
; WaveLimiterHint : 0
; COMPUTE_PGM_RSRC2:SCRATCH_EN: 0
; COMPUTE_PGM_RSRC2:USER_SGPR: 15
; COMPUTE_PGM_RSRC2:TRAP_HANDLER: 0
; COMPUTE_PGM_RSRC2:TGID_X_EN: 1
; COMPUTE_PGM_RSRC2:TGID_Y_EN: 0
; COMPUTE_PGM_RSRC2:TGID_Z_EN: 0
; COMPUTE_PGM_RSRC2:TIDIG_COMP_CNT: 0
	.section	.text._Z33head_segmented_warp_reduce_kernelIihLj1ELj61EENSt9enable_ifIXntsr10test_utilsE35device_test_enabled_for_warp_size_vIXT2_EEEvE4typeEPT_PT0_S4_,"axG",@progbits,_Z33head_segmented_warp_reduce_kernelIihLj1ELj61EENSt9enable_ifIXntsr10test_utilsE35device_test_enabled_for_warp_size_vIXT2_EEEvE4typeEPT_PT0_S4_,comdat
	.protected	_Z33head_segmented_warp_reduce_kernelIihLj1ELj61EENSt9enable_ifIXntsr10test_utilsE35device_test_enabled_for_warp_size_vIXT2_EEEvE4typeEPT_PT0_S4_ ; -- Begin function _Z33head_segmented_warp_reduce_kernelIihLj1ELj61EENSt9enable_ifIXntsr10test_utilsE35device_test_enabled_for_warp_size_vIXT2_EEEvE4typeEPT_PT0_S4_
	.globl	_Z33head_segmented_warp_reduce_kernelIihLj1ELj61EENSt9enable_ifIXntsr10test_utilsE35device_test_enabled_for_warp_size_vIXT2_EEEvE4typeEPT_PT0_S4_
	.p2align	8
	.type	_Z33head_segmented_warp_reduce_kernelIihLj1ELj61EENSt9enable_ifIXntsr10test_utilsE35device_test_enabled_for_warp_size_vIXT2_EEEvE4typeEPT_PT0_S4_,@function
_Z33head_segmented_warp_reduce_kernelIihLj1ELj61EENSt9enable_ifIXntsr10test_utilsE35device_test_enabled_for_warp_size_vIXT2_EEEvE4typeEPT_PT0_S4_: ; @_Z33head_segmented_warp_reduce_kernelIihLj1ELj61EENSt9enable_ifIXntsr10test_utilsE35device_test_enabled_for_warp_size_vIXT2_EEEvE4typeEPT_PT0_S4_
; %bb.0:
	s_endpgm
	.section	.rodata,"a",@progbits
	.p2align	6, 0x0
	.amdhsa_kernel _Z33head_segmented_warp_reduce_kernelIihLj1ELj61EENSt9enable_ifIXntsr10test_utilsE35device_test_enabled_for_warp_size_vIXT2_EEEvE4typeEPT_PT0_S4_
		.amdhsa_group_segment_fixed_size 0
		.amdhsa_private_segment_fixed_size 0
		.amdhsa_kernarg_size 24
		.amdhsa_user_sgpr_count 15
		.amdhsa_user_sgpr_dispatch_ptr 0
		.amdhsa_user_sgpr_queue_ptr 0
		.amdhsa_user_sgpr_kernarg_segment_ptr 1
		.amdhsa_user_sgpr_dispatch_id 0
		.amdhsa_user_sgpr_private_segment_size 0
		.amdhsa_wavefront_size32 1
		.amdhsa_uses_dynamic_stack 0
		.amdhsa_enable_private_segment 0
		.amdhsa_system_sgpr_workgroup_id_x 1
		.amdhsa_system_sgpr_workgroup_id_y 0
		.amdhsa_system_sgpr_workgroup_id_z 0
		.amdhsa_system_sgpr_workgroup_info 0
		.amdhsa_system_vgpr_workitem_id 0
		.amdhsa_next_free_vgpr 1
		.amdhsa_next_free_sgpr 1
		.amdhsa_reserve_vcc 0
		.amdhsa_float_round_mode_32 0
		.amdhsa_float_round_mode_16_64 0
		.amdhsa_float_denorm_mode_32 3
		.amdhsa_float_denorm_mode_16_64 3
		.amdhsa_dx10_clamp 1
		.amdhsa_ieee_mode 1
		.amdhsa_fp16_overflow 0
		.amdhsa_workgroup_processor_mode 1
		.amdhsa_memory_ordered 1
		.amdhsa_forward_progress 0
		.amdhsa_shared_vgpr_count 0
		.amdhsa_exception_fp_ieee_invalid_op 0
		.amdhsa_exception_fp_denorm_src 0
		.amdhsa_exception_fp_ieee_div_zero 0
		.amdhsa_exception_fp_ieee_overflow 0
		.amdhsa_exception_fp_ieee_underflow 0
		.amdhsa_exception_fp_ieee_inexact 0
		.amdhsa_exception_int_div_zero 0
	.end_amdhsa_kernel
	.section	.text._Z33head_segmented_warp_reduce_kernelIihLj1ELj61EENSt9enable_ifIXntsr10test_utilsE35device_test_enabled_for_warp_size_vIXT2_EEEvE4typeEPT_PT0_S4_,"axG",@progbits,_Z33head_segmented_warp_reduce_kernelIihLj1ELj61EENSt9enable_ifIXntsr10test_utilsE35device_test_enabled_for_warp_size_vIXT2_EEEvE4typeEPT_PT0_S4_,comdat
.Lfunc_end138:
	.size	_Z33head_segmented_warp_reduce_kernelIihLj1ELj61EENSt9enable_ifIXntsr10test_utilsE35device_test_enabled_for_warp_size_vIXT2_EEEvE4typeEPT_PT0_S4_, .Lfunc_end138-_Z33head_segmented_warp_reduce_kernelIihLj1ELj61EENSt9enable_ifIXntsr10test_utilsE35device_test_enabled_for_warp_size_vIXT2_EEEvE4typeEPT_PT0_S4_
                                        ; -- End function
	.section	.AMDGPU.csdata,"",@progbits
; Kernel info:
; codeLenInByte = 4
; NumSgprs: 0
; NumVgprs: 0
; ScratchSize: 0
; MemoryBound: 0
; FloatMode: 240
; IeeeMode: 1
; LDSByteSize: 0 bytes/workgroup (compile time only)
; SGPRBlocks: 0
; VGPRBlocks: 0
; NumSGPRsForWavesPerEU: 1
; NumVGPRsForWavesPerEU: 1
; Occupancy: 16
; WaveLimiterHint : 0
; COMPUTE_PGM_RSRC2:SCRATCH_EN: 0
; COMPUTE_PGM_RSRC2:USER_SGPR: 15
; COMPUTE_PGM_RSRC2:TRAP_HANDLER: 0
; COMPUTE_PGM_RSRC2:TGID_X_EN: 1
; COMPUTE_PGM_RSRC2:TGID_Y_EN: 0
; COMPUTE_PGM_RSRC2:TGID_Z_EN: 0
; COMPUTE_PGM_RSRC2:TIDIG_COMP_CNT: 0
	.section	.text._Z33head_segmented_warp_reduce_kernelIihLj61ELj61EENSt9enable_ifIXntsr10test_utilsE35device_test_enabled_for_warp_size_vIXT2_EEEvE4typeEPT_PT0_S4_,"axG",@progbits,_Z33head_segmented_warp_reduce_kernelIihLj61ELj61EENSt9enable_ifIXntsr10test_utilsE35device_test_enabled_for_warp_size_vIXT2_EEEvE4typeEPT_PT0_S4_,comdat
	.protected	_Z33head_segmented_warp_reduce_kernelIihLj61ELj61EENSt9enable_ifIXntsr10test_utilsE35device_test_enabled_for_warp_size_vIXT2_EEEvE4typeEPT_PT0_S4_ ; -- Begin function _Z33head_segmented_warp_reduce_kernelIihLj61ELj61EENSt9enable_ifIXntsr10test_utilsE35device_test_enabled_for_warp_size_vIXT2_EEEvE4typeEPT_PT0_S4_
	.globl	_Z33head_segmented_warp_reduce_kernelIihLj61ELj61EENSt9enable_ifIXntsr10test_utilsE35device_test_enabled_for_warp_size_vIXT2_EEEvE4typeEPT_PT0_S4_
	.p2align	8
	.type	_Z33head_segmented_warp_reduce_kernelIihLj61ELj61EENSt9enable_ifIXntsr10test_utilsE35device_test_enabled_for_warp_size_vIXT2_EEEvE4typeEPT_PT0_S4_,@function
_Z33head_segmented_warp_reduce_kernelIihLj61ELj61EENSt9enable_ifIXntsr10test_utilsE35device_test_enabled_for_warp_size_vIXT2_EEEvE4typeEPT_PT0_S4_: ; @_Z33head_segmented_warp_reduce_kernelIihLj61ELj61EENSt9enable_ifIXntsr10test_utilsE35device_test_enabled_for_warp_size_vIXT2_EEEvE4typeEPT_PT0_S4_
; %bb.0:
	s_endpgm
	.section	.rodata,"a",@progbits
	.p2align	6, 0x0
	.amdhsa_kernel _Z33head_segmented_warp_reduce_kernelIihLj61ELj61EENSt9enable_ifIXntsr10test_utilsE35device_test_enabled_for_warp_size_vIXT2_EEEvE4typeEPT_PT0_S4_
		.amdhsa_group_segment_fixed_size 0
		.amdhsa_private_segment_fixed_size 0
		.amdhsa_kernarg_size 24
		.amdhsa_user_sgpr_count 15
		.amdhsa_user_sgpr_dispatch_ptr 0
		.amdhsa_user_sgpr_queue_ptr 0
		.amdhsa_user_sgpr_kernarg_segment_ptr 1
		.amdhsa_user_sgpr_dispatch_id 0
		.amdhsa_user_sgpr_private_segment_size 0
		.amdhsa_wavefront_size32 1
		.amdhsa_uses_dynamic_stack 0
		.amdhsa_enable_private_segment 0
		.amdhsa_system_sgpr_workgroup_id_x 1
		.amdhsa_system_sgpr_workgroup_id_y 0
		.amdhsa_system_sgpr_workgroup_id_z 0
		.amdhsa_system_sgpr_workgroup_info 0
		.amdhsa_system_vgpr_workitem_id 0
		.amdhsa_next_free_vgpr 1
		.amdhsa_next_free_sgpr 1
		.amdhsa_reserve_vcc 0
		.amdhsa_float_round_mode_32 0
		.amdhsa_float_round_mode_16_64 0
		.amdhsa_float_denorm_mode_32 3
		.amdhsa_float_denorm_mode_16_64 3
		.amdhsa_dx10_clamp 1
		.amdhsa_ieee_mode 1
		.amdhsa_fp16_overflow 0
		.amdhsa_workgroup_processor_mode 1
		.amdhsa_memory_ordered 1
		.amdhsa_forward_progress 0
		.amdhsa_shared_vgpr_count 0
		.amdhsa_exception_fp_ieee_invalid_op 0
		.amdhsa_exception_fp_denorm_src 0
		.amdhsa_exception_fp_ieee_div_zero 0
		.amdhsa_exception_fp_ieee_overflow 0
		.amdhsa_exception_fp_ieee_underflow 0
		.amdhsa_exception_fp_ieee_inexact 0
		.amdhsa_exception_int_div_zero 0
	.end_amdhsa_kernel
	.section	.text._Z33head_segmented_warp_reduce_kernelIihLj61ELj61EENSt9enable_ifIXntsr10test_utilsE35device_test_enabled_for_warp_size_vIXT2_EEEvE4typeEPT_PT0_S4_,"axG",@progbits,_Z33head_segmented_warp_reduce_kernelIihLj61ELj61EENSt9enable_ifIXntsr10test_utilsE35device_test_enabled_for_warp_size_vIXT2_EEEvE4typeEPT_PT0_S4_,comdat
.Lfunc_end139:
	.size	_Z33head_segmented_warp_reduce_kernelIihLj61ELj61EENSt9enable_ifIXntsr10test_utilsE35device_test_enabled_for_warp_size_vIXT2_EEEvE4typeEPT_PT0_S4_, .Lfunc_end139-_Z33head_segmented_warp_reduce_kernelIihLj61ELj61EENSt9enable_ifIXntsr10test_utilsE35device_test_enabled_for_warp_size_vIXT2_EEEvE4typeEPT_PT0_S4_
                                        ; -- End function
	.section	.AMDGPU.csdata,"",@progbits
; Kernel info:
; codeLenInByte = 4
; NumSgprs: 0
; NumVgprs: 0
; ScratchSize: 0
; MemoryBound: 0
; FloatMode: 240
; IeeeMode: 1
; LDSByteSize: 0 bytes/workgroup (compile time only)
; SGPRBlocks: 0
; VGPRBlocks: 0
; NumSGPRsForWavesPerEU: 1
; NumVGPRsForWavesPerEU: 1
; Occupancy: 16
; WaveLimiterHint : 0
; COMPUTE_PGM_RSRC2:SCRATCH_EN: 0
; COMPUTE_PGM_RSRC2:USER_SGPR: 15
; COMPUTE_PGM_RSRC2:TRAP_HANDLER: 0
; COMPUTE_PGM_RSRC2:TGID_X_EN: 1
; COMPUTE_PGM_RSRC2:TGID_Y_EN: 0
; COMPUTE_PGM_RSRC2:TGID_Z_EN: 0
; COMPUTE_PGM_RSRC2:TIDIG_COMP_CNT: 0
	.section	.text._Z33head_segmented_warp_reduce_kernelIihLj1ELj37EENSt9enable_ifIXntsr10test_utilsE35device_test_enabled_for_warp_size_vIXT2_EEEvE4typeEPT_PT0_S4_,"axG",@progbits,_Z33head_segmented_warp_reduce_kernelIihLj1ELj37EENSt9enable_ifIXntsr10test_utilsE35device_test_enabled_for_warp_size_vIXT2_EEEvE4typeEPT_PT0_S4_,comdat
	.protected	_Z33head_segmented_warp_reduce_kernelIihLj1ELj37EENSt9enable_ifIXntsr10test_utilsE35device_test_enabled_for_warp_size_vIXT2_EEEvE4typeEPT_PT0_S4_ ; -- Begin function _Z33head_segmented_warp_reduce_kernelIihLj1ELj37EENSt9enable_ifIXntsr10test_utilsE35device_test_enabled_for_warp_size_vIXT2_EEEvE4typeEPT_PT0_S4_
	.globl	_Z33head_segmented_warp_reduce_kernelIihLj1ELj37EENSt9enable_ifIXntsr10test_utilsE35device_test_enabled_for_warp_size_vIXT2_EEEvE4typeEPT_PT0_S4_
	.p2align	8
	.type	_Z33head_segmented_warp_reduce_kernelIihLj1ELj37EENSt9enable_ifIXntsr10test_utilsE35device_test_enabled_for_warp_size_vIXT2_EEEvE4typeEPT_PT0_S4_,@function
_Z33head_segmented_warp_reduce_kernelIihLj1ELj37EENSt9enable_ifIXntsr10test_utilsE35device_test_enabled_for_warp_size_vIXT2_EEEvE4typeEPT_PT0_S4_: ; @_Z33head_segmented_warp_reduce_kernelIihLj1ELj37EENSt9enable_ifIXntsr10test_utilsE35device_test_enabled_for_warp_size_vIXT2_EEEvE4typeEPT_PT0_S4_
; %bb.0:
	s_endpgm
	.section	.rodata,"a",@progbits
	.p2align	6, 0x0
	.amdhsa_kernel _Z33head_segmented_warp_reduce_kernelIihLj1ELj37EENSt9enable_ifIXntsr10test_utilsE35device_test_enabled_for_warp_size_vIXT2_EEEvE4typeEPT_PT0_S4_
		.amdhsa_group_segment_fixed_size 0
		.amdhsa_private_segment_fixed_size 0
		.amdhsa_kernarg_size 24
		.amdhsa_user_sgpr_count 15
		.amdhsa_user_sgpr_dispatch_ptr 0
		.amdhsa_user_sgpr_queue_ptr 0
		.amdhsa_user_sgpr_kernarg_segment_ptr 1
		.amdhsa_user_sgpr_dispatch_id 0
		.amdhsa_user_sgpr_private_segment_size 0
		.amdhsa_wavefront_size32 1
		.amdhsa_uses_dynamic_stack 0
		.amdhsa_enable_private_segment 0
		.amdhsa_system_sgpr_workgroup_id_x 1
		.amdhsa_system_sgpr_workgroup_id_y 0
		.amdhsa_system_sgpr_workgroup_id_z 0
		.amdhsa_system_sgpr_workgroup_info 0
		.amdhsa_system_vgpr_workitem_id 0
		.amdhsa_next_free_vgpr 1
		.amdhsa_next_free_sgpr 1
		.amdhsa_reserve_vcc 0
		.amdhsa_float_round_mode_32 0
		.amdhsa_float_round_mode_16_64 0
		.amdhsa_float_denorm_mode_32 3
		.amdhsa_float_denorm_mode_16_64 3
		.amdhsa_dx10_clamp 1
		.amdhsa_ieee_mode 1
		.amdhsa_fp16_overflow 0
		.amdhsa_workgroup_processor_mode 1
		.amdhsa_memory_ordered 1
		.amdhsa_forward_progress 0
		.amdhsa_shared_vgpr_count 0
		.amdhsa_exception_fp_ieee_invalid_op 0
		.amdhsa_exception_fp_denorm_src 0
		.amdhsa_exception_fp_ieee_div_zero 0
		.amdhsa_exception_fp_ieee_overflow 0
		.amdhsa_exception_fp_ieee_underflow 0
		.amdhsa_exception_fp_ieee_inexact 0
		.amdhsa_exception_int_div_zero 0
	.end_amdhsa_kernel
	.section	.text._Z33head_segmented_warp_reduce_kernelIihLj1ELj37EENSt9enable_ifIXntsr10test_utilsE35device_test_enabled_for_warp_size_vIXT2_EEEvE4typeEPT_PT0_S4_,"axG",@progbits,_Z33head_segmented_warp_reduce_kernelIihLj1ELj37EENSt9enable_ifIXntsr10test_utilsE35device_test_enabled_for_warp_size_vIXT2_EEEvE4typeEPT_PT0_S4_,comdat
.Lfunc_end140:
	.size	_Z33head_segmented_warp_reduce_kernelIihLj1ELj37EENSt9enable_ifIXntsr10test_utilsE35device_test_enabled_for_warp_size_vIXT2_EEEvE4typeEPT_PT0_S4_, .Lfunc_end140-_Z33head_segmented_warp_reduce_kernelIihLj1ELj37EENSt9enable_ifIXntsr10test_utilsE35device_test_enabled_for_warp_size_vIXT2_EEEvE4typeEPT_PT0_S4_
                                        ; -- End function
	.section	.AMDGPU.csdata,"",@progbits
; Kernel info:
; codeLenInByte = 4
; NumSgprs: 0
; NumVgprs: 0
; ScratchSize: 0
; MemoryBound: 0
; FloatMode: 240
; IeeeMode: 1
; LDSByteSize: 0 bytes/workgroup (compile time only)
; SGPRBlocks: 0
; VGPRBlocks: 0
; NumSGPRsForWavesPerEU: 1
; NumVGPRsForWavesPerEU: 1
; Occupancy: 16
; WaveLimiterHint : 0
; COMPUTE_PGM_RSRC2:SCRATCH_EN: 0
; COMPUTE_PGM_RSRC2:USER_SGPR: 15
; COMPUTE_PGM_RSRC2:TRAP_HANDLER: 0
; COMPUTE_PGM_RSRC2:TGID_X_EN: 1
; COMPUTE_PGM_RSRC2:TGID_Y_EN: 0
; COMPUTE_PGM_RSRC2:TGID_Z_EN: 0
; COMPUTE_PGM_RSRC2:TIDIG_COMP_CNT: 0
	.section	.text._Z33head_segmented_warp_reduce_kernelIihLj37ELj37EENSt9enable_ifIXntsr10test_utilsE35device_test_enabled_for_warp_size_vIXT2_EEEvE4typeEPT_PT0_S4_,"axG",@progbits,_Z33head_segmented_warp_reduce_kernelIihLj37ELj37EENSt9enable_ifIXntsr10test_utilsE35device_test_enabled_for_warp_size_vIXT2_EEEvE4typeEPT_PT0_S4_,comdat
	.protected	_Z33head_segmented_warp_reduce_kernelIihLj37ELj37EENSt9enable_ifIXntsr10test_utilsE35device_test_enabled_for_warp_size_vIXT2_EEEvE4typeEPT_PT0_S4_ ; -- Begin function _Z33head_segmented_warp_reduce_kernelIihLj37ELj37EENSt9enable_ifIXntsr10test_utilsE35device_test_enabled_for_warp_size_vIXT2_EEEvE4typeEPT_PT0_S4_
	.globl	_Z33head_segmented_warp_reduce_kernelIihLj37ELj37EENSt9enable_ifIXntsr10test_utilsE35device_test_enabled_for_warp_size_vIXT2_EEEvE4typeEPT_PT0_S4_
	.p2align	8
	.type	_Z33head_segmented_warp_reduce_kernelIihLj37ELj37EENSt9enable_ifIXntsr10test_utilsE35device_test_enabled_for_warp_size_vIXT2_EEEvE4typeEPT_PT0_S4_,@function
_Z33head_segmented_warp_reduce_kernelIihLj37ELj37EENSt9enable_ifIXntsr10test_utilsE35device_test_enabled_for_warp_size_vIXT2_EEEvE4typeEPT_PT0_S4_: ; @_Z33head_segmented_warp_reduce_kernelIihLj37ELj37EENSt9enable_ifIXntsr10test_utilsE35device_test_enabled_for_warp_size_vIXT2_EEEvE4typeEPT_PT0_S4_
; %bb.0:
	s_endpgm
	.section	.rodata,"a",@progbits
	.p2align	6, 0x0
	.amdhsa_kernel _Z33head_segmented_warp_reduce_kernelIihLj37ELj37EENSt9enable_ifIXntsr10test_utilsE35device_test_enabled_for_warp_size_vIXT2_EEEvE4typeEPT_PT0_S4_
		.amdhsa_group_segment_fixed_size 0
		.amdhsa_private_segment_fixed_size 0
		.amdhsa_kernarg_size 24
		.amdhsa_user_sgpr_count 15
		.amdhsa_user_sgpr_dispatch_ptr 0
		.amdhsa_user_sgpr_queue_ptr 0
		.amdhsa_user_sgpr_kernarg_segment_ptr 1
		.amdhsa_user_sgpr_dispatch_id 0
		.amdhsa_user_sgpr_private_segment_size 0
		.amdhsa_wavefront_size32 1
		.amdhsa_uses_dynamic_stack 0
		.amdhsa_enable_private_segment 0
		.amdhsa_system_sgpr_workgroup_id_x 1
		.amdhsa_system_sgpr_workgroup_id_y 0
		.amdhsa_system_sgpr_workgroup_id_z 0
		.amdhsa_system_sgpr_workgroup_info 0
		.amdhsa_system_vgpr_workitem_id 0
		.amdhsa_next_free_vgpr 1
		.amdhsa_next_free_sgpr 1
		.amdhsa_reserve_vcc 0
		.amdhsa_float_round_mode_32 0
		.amdhsa_float_round_mode_16_64 0
		.amdhsa_float_denorm_mode_32 3
		.amdhsa_float_denorm_mode_16_64 3
		.amdhsa_dx10_clamp 1
		.amdhsa_ieee_mode 1
		.amdhsa_fp16_overflow 0
		.amdhsa_workgroup_processor_mode 1
		.amdhsa_memory_ordered 1
		.amdhsa_forward_progress 0
		.amdhsa_shared_vgpr_count 0
		.amdhsa_exception_fp_ieee_invalid_op 0
		.amdhsa_exception_fp_denorm_src 0
		.amdhsa_exception_fp_ieee_div_zero 0
		.amdhsa_exception_fp_ieee_overflow 0
		.amdhsa_exception_fp_ieee_underflow 0
		.amdhsa_exception_fp_ieee_inexact 0
		.amdhsa_exception_int_div_zero 0
	.end_amdhsa_kernel
	.section	.text._Z33head_segmented_warp_reduce_kernelIihLj37ELj37EENSt9enable_ifIXntsr10test_utilsE35device_test_enabled_for_warp_size_vIXT2_EEEvE4typeEPT_PT0_S4_,"axG",@progbits,_Z33head_segmented_warp_reduce_kernelIihLj37ELj37EENSt9enable_ifIXntsr10test_utilsE35device_test_enabled_for_warp_size_vIXT2_EEEvE4typeEPT_PT0_S4_,comdat
.Lfunc_end141:
	.size	_Z33head_segmented_warp_reduce_kernelIihLj37ELj37EENSt9enable_ifIXntsr10test_utilsE35device_test_enabled_for_warp_size_vIXT2_EEEvE4typeEPT_PT0_S4_, .Lfunc_end141-_Z33head_segmented_warp_reduce_kernelIihLj37ELj37EENSt9enable_ifIXntsr10test_utilsE35device_test_enabled_for_warp_size_vIXT2_EEEvE4typeEPT_PT0_S4_
                                        ; -- End function
	.section	.AMDGPU.csdata,"",@progbits
; Kernel info:
; codeLenInByte = 4
; NumSgprs: 0
; NumVgprs: 0
; ScratchSize: 0
; MemoryBound: 0
; FloatMode: 240
; IeeeMode: 1
; LDSByteSize: 0 bytes/workgroup (compile time only)
; SGPRBlocks: 0
; VGPRBlocks: 0
; NumSGPRsForWavesPerEU: 1
; NumVGPRsForWavesPerEU: 1
; Occupancy: 16
; WaveLimiterHint : 0
; COMPUTE_PGM_RSRC2:SCRATCH_EN: 0
; COMPUTE_PGM_RSRC2:USER_SGPR: 15
; COMPUTE_PGM_RSRC2:TRAP_HANDLER: 0
; COMPUTE_PGM_RSRC2:TGID_X_EN: 1
; COMPUTE_PGM_RSRC2:TGID_Y_EN: 0
; COMPUTE_PGM_RSRC2:TGID_Z_EN: 0
; COMPUTE_PGM_RSRC2:TIDIG_COMP_CNT: 0
	.section	.text._Z33head_segmented_warp_reduce_kernelIihLj30ELj15EENSt9enable_ifIXsr10test_utilsE35device_test_enabled_for_warp_size_vIXT2_EEEvE4typeEPT_PT0_S4_,"axG",@progbits,_Z33head_segmented_warp_reduce_kernelIihLj30ELj15EENSt9enable_ifIXsr10test_utilsE35device_test_enabled_for_warp_size_vIXT2_EEEvE4typeEPT_PT0_S4_,comdat
	.protected	_Z33head_segmented_warp_reduce_kernelIihLj30ELj15EENSt9enable_ifIXsr10test_utilsE35device_test_enabled_for_warp_size_vIXT2_EEEvE4typeEPT_PT0_S4_ ; -- Begin function _Z33head_segmented_warp_reduce_kernelIihLj30ELj15EENSt9enable_ifIXsr10test_utilsE35device_test_enabled_for_warp_size_vIXT2_EEEvE4typeEPT_PT0_S4_
	.globl	_Z33head_segmented_warp_reduce_kernelIihLj30ELj15EENSt9enable_ifIXsr10test_utilsE35device_test_enabled_for_warp_size_vIXT2_EEEvE4typeEPT_PT0_S4_
	.p2align	8
	.type	_Z33head_segmented_warp_reduce_kernelIihLj30ELj15EENSt9enable_ifIXsr10test_utilsE35device_test_enabled_for_warp_size_vIXT2_EEEvE4typeEPT_PT0_S4_,@function
_Z33head_segmented_warp_reduce_kernelIihLj30ELj15EENSt9enable_ifIXsr10test_utilsE35device_test_enabled_for_warp_size_vIXT2_EEEvE4typeEPT_PT0_S4_: ; @_Z33head_segmented_warp_reduce_kernelIihLj30ELj15EENSt9enable_ifIXsr10test_utilsE35device_test_enabled_for_warp_size_vIXT2_EEEvE4typeEPT_PT0_S4_
; %bb.0:
	s_clause 0x1
	s_load_b32 s2, s[0:1], 0x24
	s_load_b128 s[4:7], s[0:1], 0x0
	s_waitcnt lgkmcnt(0)
	s_and_b32 s2, s2, 0xffff
	s_delay_alu instid0(SALU_CYCLE_1) | instskip(SKIP_2) | instid1(VALU_DEP_1)
	v_mad_u64_u32 v[1:2], null, s15, s2, v[0:1]
	v_mov_b32_e32 v2, 0
	v_mul_u32_u24_e32 v0, 0x1112, v0
	v_lshrrev_b32_e32 v0, 16, v0
	global_load_u8 v5, v1, s[6:7]
	v_lshlrev_b64 v[1:2], 2, v[1:2]
	s_delay_alu instid0(VALU_DEP_1) | instskip(NEXT) | instid1(VALU_DEP_2)
	v_add_co_u32 v3, vcc_lo, s4, v1
	v_add_co_ci_u32_e32 v4, vcc_lo, s5, v2, vcc_lo
	global_load_b32 v3, v[3:4], off
	v_mbcnt_lo_u32_b32 v4, -1, 0
	s_delay_alu instid0(VALU_DEP_1) | instskip(NEXT) | instid1(VALU_DEP_1)
	v_mul_hi_u32 v6, 0x11111112, v4
	v_mul_u32_u24_e32 v6, 15, v6
	s_waitcnt vmcnt(1)
	v_cmp_ne_u16_e32 vcc_lo, 0, v5
	v_lshlrev_b32_e64 v5, v4, -1
	s_delay_alu instid0(VALU_DEP_3)
	v_sub_nc_u32_e32 v4, v4, v6
	s_lshr_b32 s2, vcc_lo, 1
	s_delay_alu instid0(VALU_DEP_2) | instid1(SALU_CYCLE_1)
	v_and_b32_e32 v5, s2, v5
	s_mov_b32 s2, exec_lo
	s_delay_alu instid0(VALU_DEP_1) | instskip(SKIP_1) | instid1(VALU_DEP_2)
	v_lshrrev_b32_e32 v5, v6, v5
	v_lshlrev_b32_e32 v6, 2, v4
	v_or_b32_e32 v5, 0x4000, v5
	s_delay_alu instid0(VALU_DEP_2) | instskip(NEXT) | instid1(VALU_DEP_2)
	v_mad_u32_u24 v0, v0, 60, v6
	v_ctz_i32_b32_e32 v5, v5
	s_waitcnt vmcnt(0)
	ds_store_b32 v0, v3
	; wave barrier
	v_cmpx_lt_u32_e64 v4, v5
	s_cbranch_execz .LBB142_2
; %bb.1:
	ds_load_b32 v6, v0 offset:4
	s_waitcnt lgkmcnt(0)
	v_add_nc_u32_e32 v3, v6, v3
.LBB142_2:
	s_or_b32 exec_lo, exec_lo, s2
	s_load_b64 s[0:1], s[0:1], 0x10
	v_add_nc_u32_e32 v6, 2, v4
	s_mov_b32 s2, exec_lo
	; wave barrier
	ds_store_b32 v0, v3
	; wave barrier
	v_cmpx_le_u32_e64 v6, v5
	s_cbranch_execz .LBB142_4
; %bb.3:
	ds_load_b32 v6, v0 offset:8
	s_waitcnt lgkmcnt(0)
	v_add_nc_u32_e32 v3, v6, v3
.LBB142_4:
	s_or_b32 exec_lo, exec_lo, s2
	v_add_nc_u32_e32 v6, 4, v4
	s_mov_b32 s2, exec_lo
	; wave barrier
	ds_store_b32 v0, v3
	; wave barrier
	v_cmpx_le_u32_e64 v6, v5
	s_cbranch_execz .LBB142_6
; %bb.5:
	ds_load_b32 v6, v0 offset:16
	s_waitcnt lgkmcnt(0)
	v_add_nc_u32_e32 v3, v6, v3
.LBB142_6:
	s_or_b32 exec_lo, exec_lo, s2
	;; [unrolled: 13-line block ×3, first 2 shown]
	s_waitcnt lgkmcnt(0)
	v_add_co_u32 v0, vcc_lo, s0, v1
	v_add_co_ci_u32_e32 v1, vcc_lo, s1, v2, vcc_lo
	; wave barrier
	global_store_b32 v[0:1], v3, off
	s_nop 0
	s_sendmsg sendmsg(MSG_DEALLOC_VGPRS)
	s_endpgm
	.section	.rodata,"a",@progbits
	.p2align	6, 0x0
	.amdhsa_kernel _Z33head_segmented_warp_reduce_kernelIihLj30ELj15EENSt9enable_ifIXsr10test_utilsE35device_test_enabled_for_warp_size_vIXT2_EEEvE4typeEPT_PT0_S4_
		.amdhsa_group_segment_fixed_size 120
		.amdhsa_private_segment_fixed_size 0
		.amdhsa_kernarg_size 280
		.amdhsa_user_sgpr_count 15
		.amdhsa_user_sgpr_dispatch_ptr 0
		.amdhsa_user_sgpr_queue_ptr 0
		.amdhsa_user_sgpr_kernarg_segment_ptr 1
		.amdhsa_user_sgpr_dispatch_id 0
		.amdhsa_user_sgpr_private_segment_size 0
		.amdhsa_wavefront_size32 1
		.amdhsa_uses_dynamic_stack 0
		.amdhsa_enable_private_segment 0
		.amdhsa_system_sgpr_workgroup_id_x 1
		.amdhsa_system_sgpr_workgroup_id_y 0
		.amdhsa_system_sgpr_workgroup_id_z 0
		.amdhsa_system_sgpr_workgroup_info 0
		.amdhsa_system_vgpr_workitem_id 0
		.amdhsa_next_free_vgpr 7
		.amdhsa_next_free_sgpr 16
		.amdhsa_reserve_vcc 1
		.amdhsa_float_round_mode_32 0
		.amdhsa_float_round_mode_16_64 0
		.amdhsa_float_denorm_mode_32 3
		.amdhsa_float_denorm_mode_16_64 3
		.amdhsa_dx10_clamp 1
		.amdhsa_ieee_mode 1
		.amdhsa_fp16_overflow 0
		.amdhsa_workgroup_processor_mode 1
		.amdhsa_memory_ordered 1
		.amdhsa_forward_progress 0
		.amdhsa_shared_vgpr_count 0
		.amdhsa_exception_fp_ieee_invalid_op 0
		.amdhsa_exception_fp_denorm_src 0
		.amdhsa_exception_fp_ieee_div_zero 0
		.amdhsa_exception_fp_ieee_overflow 0
		.amdhsa_exception_fp_ieee_underflow 0
		.amdhsa_exception_fp_ieee_inexact 0
		.amdhsa_exception_int_div_zero 0
	.end_amdhsa_kernel
	.section	.text._Z33head_segmented_warp_reduce_kernelIihLj30ELj15EENSt9enable_ifIXsr10test_utilsE35device_test_enabled_for_warp_size_vIXT2_EEEvE4typeEPT_PT0_S4_,"axG",@progbits,_Z33head_segmented_warp_reduce_kernelIihLj30ELj15EENSt9enable_ifIXsr10test_utilsE35device_test_enabled_for_warp_size_vIXT2_EEEvE4typeEPT_PT0_S4_,comdat
.Lfunc_end142:
	.size	_Z33head_segmented_warp_reduce_kernelIihLj30ELj15EENSt9enable_ifIXsr10test_utilsE35device_test_enabled_for_warp_size_vIXT2_EEEvE4typeEPT_PT0_S4_, .Lfunc_end142-_Z33head_segmented_warp_reduce_kernelIihLj30ELj15EENSt9enable_ifIXsr10test_utilsE35device_test_enabled_for_warp_size_vIXT2_EEEvE4typeEPT_PT0_S4_
                                        ; -- End function
	.section	.AMDGPU.csdata,"",@progbits
; Kernel info:
; codeLenInByte = 436
; NumSgprs: 18
; NumVgprs: 7
; ScratchSize: 0
; MemoryBound: 0
; FloatMode: 240
; IeeeMode: 1
; LDSByteSize: 120 bytes/workgroup (compile time only)
; SGPRBlocks: 2
; VGPRBlocks: 0
; NumSGPRsForWavesPerEU: 18
; NumVGPRsForWavesPerEU: 7
; Occupancy: 16
; WaveLimiterHint : 0
; COMPUTE_PGM_RSRC2:SCRATCH_EN: 0
; COMPUTE_PGM_RSRC2:USER_SGPR: 15
; COMPUTE_PGM_RSRC2:TRAP_HANDLER: 0
; COMPUTE_PGM_RSRC2:TGID_X_EN: 1
; COMPUTE_PGM_RSRC2:TGID_Y_EN: 0
; COMPUTE_PGM_RSRC2:TGID_Z_EN: 0
; COMPUTE_PGM_RSRC2:TIDIG_COMP_CNT: 0
	.section	.text._Z33head_segmented_warp_reduce_kernelIihLj60ELj15EENSt9enable_ifIXsr10test_utilsE35device_test_enabled_for_warp_size_vIXT2_EEEvE4typeEPT_PT0_S4_,"axG",@progbits,_Z33head_segmented_warp_reduce_kernelIihLj60ELj15EENSt9enable_ifIXsr10test_utilsE35device_test_enabled_for_warp_size_vIXT2_EEEvE4typeEPT_PT0_S4_,comdat
	.protected	_Z33head_segmented_warp_reduce_kernelIihLj60ELj15EENSt9enable_ifIXsr10test_utilsE35device_test_enabled_for_warp_size_vIXT2_EEEvE4typeEPT_PT0_S4_ ; -- Begin function _Z33head_segmented_warp_reduce_kernelIihLj60ELj15EENSt9enable_ifIXsr10test_utilsE35device_test_enabled_for_warp_size_vIXT2_EEEvE4typeEPT_PT0_S4_
	.globl	_Z33head_segmented_warp_reduce_kernelIihLj60ELj15EENSt9enable_ifIXsr10test_utilsE35device_test_enabled_for_warp_size_vIXT2_EEEvE4typeEPT_PT0_S4_
	.p2align	8
	.type	_Z33head_segmented_warp_reduce_kernelIihLj60ELj15EENSt9enable_ifIXsr10test_utilsE35device_test_enabled_for_warp_size_vIXT2_EEEvE4typeEPT_PT0_S4_,@function
_Z33head_segmented_warp_reduce_kernelIihLj60ELj15EENSt9enable_ifIXsr10test_utilsE35device_test_enabled_for_warp_size_vIXT2_EEEvE4typeEPT_PT0_S4_: ; @_Z33head_segmented_warp_reduce_kernelIihLj60ELj15EENSt9enable_ifIXsr10test_utilsE35device_test_enabled_for_warp_size_vIXT2_EEEvE4typeEPT_PT0_S4_
; %bb.0:
	s_clause 0x1
	s_load_b32 s2, s[0:1], 0x24
	s_load_b128 s[4:7], s[0:1], 0x0
	s_waitcnt lgkmcnt(0)
	s_and_b32 s2, s2, 0xffff
	s_delay_alu instid0(SALU_CYCLE_1) | instskip(SKIP_2) | instid1(VALU_DEP_1)
	v_mad_u64_u32 v[1:2], null, s15, s2, v[0:1]
	v_mov_b32_e32 v2, 0
	v_mul_u32_u24_e32 v0, 0x1112, v0
	v_lshrrev_b32_e32 v0, 16, v0
	global_load_u8 v5, v1, s[6:7]
	v_lshlrev_b64 v[1:2], 2, v[1:2]
	s_delay_alu instid0(VALU_DEP_1) | instskip(NEXT) | instid1(VALU_DEP_2)
	v_add_co_u32 v3, vcc_lo, s4, v1
	v_add_co_ci_u32_e32 v4, vcc_lo, s5, v2, vcc_lo
	global_load_b32 v3, v[3:4], off
	v_mbcnt_lo_u32_b32 v4, -1, 0
	s_delay_alu instid0(VALU_DEP_1) | instskip(NEXT) | instid1(VALU_DEP_1)
	v_mul_hi_u32 v6, 0x11111112, v4
	v_mul_u32_u24_e32 v6, 15, v6
	s_waitcnt vmcnt(1)
	v_cmp_ne_u16_e32 vcc_lo, 0, v5
	v_lshlrev_b32_e64 v5, v4, -1
	s_delay_alu instid0(VALU_DEP_3)
	v_sub_nc_u32_e32 v4, v4, v6
	s_lshr_b32 s2, vcc_lo, 1
	s_delay_alu instid0(VALU_DEP_2) | instid1(SALU_CYCLE_1)
	v_and_b32_e32 v5, s2, v5
	s_mov_b32 s2, exec_lo
	s_delay_alu instid0(VALU_DEP_1) | instskip(SKIP_1) | instid1(VALU_DEP_2)
	v_lshrrev_b32_e32 v5, v6, v5
	v_lshlrev_b32_e32 v6, 2, v4
	v_or_b32_e32 v5, 0x4000, v5
	s_delay_alu instid0(VALU_DEP_2) | instskip(NEXT) | instid1(VALU_DEP_2)
	v_mad_u32_u24 v0, v0, 60, v6
	v_ctz_i32_b32_e32 v5, v5
	s_waitcnt vmcnt(0)
	ds_store_b32 v0, v3
	; wave barrier
	v_cmpx_lt_u32_e64 v4, v5
	s_cbranch_execz .LBB143_2
; %bb.1:
	ds_load_b32 v6, v0 offset:4
	s_waitcnt lgkmcnt(0)
	v_add_nc_u32_e32 v3, v6, v3
.LBB143_2:
	s_or_b32 exec_lo, exec_lo, s2
	s_load_b64 s[0:1], s[0:1], 0x10
	v_add_nc_u32_e32 v6, 2, v4
	s_mov_b32 s2, exec_lo
	; wave barrier
	ds_store_b32 v0, v3
	; wave barrier
	v_cmpx_le_u32_e64 v6, v5
	s_cbranch_execz .LBB143_4
; %bb.3:
	ds_load_b32 v6, v0 offset:8
	s_waitcnt lgkmcnt(0)
	v_add_nc_u32_e32 v3, v6, v3
.LBB143_4:
	s_or_b32 exec_lo, exec_lo, s2
	v_add_nc_u32_e32 v6, 4, v4
	s_mov_b32 s2, exec_lo
	; wave barrier
	ds_store_b32 v0, v3
	; wave barrier
	v_cmpx_le_u32_e64 v6, v5
	s_cbranch_execz .LBB143_6
; %bb.5:
	ds_load_b32 v6, v0 offset:16
	s_waitcnt lgkmcnt(0)
	v_add_nc_u32_e32 v3, v6, v3
.LBB143_6:
	s_or_b32 exec_lo, exec_lo, s2
	;; [unrolled: 13-line block ×3, first 2 shown]
	s_waitcnt lgkmcnt(0)
	v_add_co_u32 v0, vcc_lo, s0, v1
	v_add_co_ci_u32_e32 v1, vcc_lo, s1, v2, vcc_lo
	; wave barrier
	global_store_b32 v[0:1], v3, off
	s_nop 0
	s_sendmsg sendmsg(MSG_DEALLOC_VGPRS)
	s_endpgm
	.section	.rodata,"a",@progbits
	.p2align	6, 0x0
	.amdhsa_kernel _Z33head_segmented_warp_reduce_kernelIihLj60ELj15EENSt9enable_ifIXsr10test_utilsE35device_test_enabled_for_warp_size_vIXT2_EEEvE4typeEPT_PT0_S4_
		.amdhsa_group_segment_fixed_size 240
		.amdhsa_private_segment_fixed_size 0
		.amdhsa_kernarg_size 280
		.amdhsa_user_sgpr_count 15
		.amdhsa_user_sgpr_dispatch_ptr 0
		.amdhsa_user_sgpr_queue_ptr 0
		.amdhsa_user_sgpr_kernarg_segment_ptr 1
		.amdhsa_user_sgpr_dispatch_id 0
		.amdhsa_user_sgpr_private_segment_size 0
		.amdhsa_wavefront_size32 1
		.amdhsa_uses_dynamic_stack 0
		.amdhsa_enable_private_segment 0
		.amdhsa_system_sgpr_workgroup_id_x 1
		.amdhsa_system_sgpr_workgroup_id_y 0
		.amdhsa_system_sgpr_workgroup_id_z 0
		.amdhsa_system_sgpr_workgroup_info 0
		.amdhsa_system_vgpr_workitem_id 0
		.amdhsa_next_free_vgpr 7
		.amdhsa_next_free_sgpr 16
		.amdhsa_reserve_vcc 1
		.amdhsa_float_round_mode_32 0
		.amdhsa_float_round_mode_16_64 0
		.amdhsa_float_denorm_mode_32 3
		.amdhsa_float_denorm_mode_16_64 3
		.amdhsa_dx10_clamp 1
		.amdhsa_ieee_mode 1
		.amdhsa_fp16_overflow 0
		.amdhsa_workgroup_processor_mode 1
		.amdhsa_memory_ordered 1
		.amdhsa_forward_progress 0
		.amdhsa_shared_vgpr_count 0
		.amdhsa_exception_fp_ieee_invalid_op 0
		.amdhsa_exception_fp_denorm_src 0
		.amdhsa_exception_fp_ieee_div_zero 0
		.amdhsa_exception_fp_ieee_overflow 0
		.amdhsa_exception_fp_ieee_underflow 0
		.amdhsa_exception_fp_ieee_inexact 0
		.amdhsa_exception_int_div_zero 0
	.end_amdhsa_kernel
	.section	.text._Z33head_segmented_warp_reduce_kernelIihLj60ELj15EENSt9enable_ifIXsr10test_utilsE35device_test_enabled_for_warp_size_vIXT2_EEEvE4typeEPT_PT0_S4_,"axG",@progbits,_Z33head_segmented_warp_reduce_kernelIihLj60ELj15EENSt9enable_ifIXsr10test_utilsE35device_test_enabled_for_warp_size_vIXT2_EEEvE4typeEPT_PT0_S4_,comdat
.Lfunc_end143:
	.size	_Z33head_segmented_warp_reduce_kernelIihLj60ELj15EENSt9enable_ifIXsr10test_utilsE35device_test_enabled_for_warp_size_vIXT2_EEEvE4typeEPT_PT0_S4_, .Lfunc_end143-_Z33head_segmented_warp_reduce_kernelIihLj60ELj15EENSt9enable_ifIXsr10test_utilsE35device_test_enabled_for_warp_size_vIXT2_EEEvE4typeEPT_PT0_S4_
                                        ; -- End function
	.section	.AMDGPU.csdata,"",@progbits
; Kernel info:
; codeLenInByte = 436
; NumSgprs: 18
; NumVgprs: 7
; ScratchSize: 0
; MemoryBound: 0
; FloatMode: 240
; IeeeMode: 1
; LDSByteSize: 240 bytes/workgroup (compile time only)
; SGPRBlocks: 2
; VGPRBlocks: 0
; NumSGPRsForWavesPerEU: 18
; NumVGPRsForWavesPerEU: 7
; Occupancy: 16
; WaveLimiterHint : 0
; COMPUTE_PGM_RSRC2:SCRATCH_EN: 0
; COMPUTE_PGM_RSRC2:USER_SGPR: 15
; COMPUTE_PGM_RSRC2:TRAP_HANDLER: 0
; COMPUTE_PGM_RSRC2:TGID_X_EN: 1
; COMPUTE_PGM_RSRC2:TGID_Y_EN: 0
; COMPUTE_PGM_RSRC2:TGID_Z_EN: 0
; COMPUTE_PGM_RSRC2:TIDIG_COMP_CNT: 0
	.section	.text._Z33head_segmented_warp_reduce_kernelIihLj28ELj7EENSt9enable_ifIXsr10test_utilsE35device_test_enabled_for_warp_size_vIXT2_EEEvE4typeEPT_PT0_S4_,"axG",@progbits,_Z33head_segmented_warp_reduce_kernelIihLj28ELj7EENSt9enable_ifIXsr10test_utilsE35device_test_enabled_for_warp_size_vIXT2_EEEvE4typeEPT_PT0_S4_,comdat
	.protected	_Z33head_segmented_warp_reduce_kernelIihLj28ELj7EENSt9enable_ifIXsr10test_utilsE35device_test_enabled_for_warp_size_vIXT2_EEEvE4typeEPT_PT0_S4_ ; -- Begin function _Z33head_segmented_warp_reduce_kernelIihLj28ELj7EENSt9enable_ifIXsr10test_utilsE35device_test_enabled_for_warp_size_vIXT2_EEEvE4typeEPT_PT0_S4_
	.globl	_Z33head_segmented_warp_reduce_kernelIihLj28ELj7EENSt9enable_ifIXsr10test_utilsE35device_test_enabled_for_warp_size_vIXT2_EEEvE4typeEPT_PT0_S4_
	.p2align	8
	.type	_Z33head_segmented_warp_reduce_kernelIihLj28ELj7EENSt9enable_ifIXsr10test_utilsE35device_test_enabled_for_warp_size_vIXT2_EEEvE4typeEPT_PT0_S4_,@function
_Z33head_segmented_warp_reduce_kernelIihLj28ELj7EENSt9enable_ifIXsr10test_utilsE35device_test_enabled_for_warp_size_vIXT2_EEEvE4typeEPT_PT0_S4_: ; @_Z33head_segmented_warp_reduce_kernelIihLj28ELj7EENSt9enable_ifIXsr10test_utilsE35device_test_enabled_for_warp_size_vIXT2_EEEvE4typeEPT_PT0_S4_
; %bb.0:
	s_clause 0x2
	s_load_b32 s2, s[0:1], 0x24
	s_load_b128 s[4:7], s[0:1], 0x0
	s_load_b64 s[0:1], s[0:1], 0x10
	s_waitcnt lgkmcnt(0)
	s_and_b32 s2, s2, 0xffff
	s_delay_alu instid0(SALU_CYCLE_1) | instskip(SKIP_2) | instid1(VALU_DEP_1)
	v_mad_u64_u32 v[1:2], null, s15, s2, v[0:1]
	v_mov_b32_e32 v2, 0
	v_mul_u32_u24_e32 v0, 0x2493, v0
	v_lshrrev_b32_e32 v0, 16, v0
	global_load_u8 v5, v1, s[6:7]
	v_lshlrev_b64 v[1:2], 2, v[1:2]
	s_delay_alu instid0(VALU_DEP_1) | instskip(NEXT) | instid1(VALU_DEP_2)
	v_add_co_u32 v3, vcc_lo, s4, v1
	v_add_co_ci_u32_e32 v4, vcc_lo, s5, v2, vcc_lo
	global_load_b32 v3, v[3:4], off
	v_mbcnt_lo_u32_b32 v4, -1, 0
	s_delay_alu instid0(VALU_DEP_1) | instskip(NEXT) | instid1(VALU_DEP_1)
	v_mul_hi_u32 v6, 0x24924925, v4
	v_mul_u32_u24_e32 v6, 7, v6
	s_waitcnt vmcnt(1)
	v_cmp_ne_u16_e32 vcc_lo, 0, v5
	v_lshlrev_b32_e64 v5, v4, -1
	s_delay_alu instid0(VALU_DEP_3)
	v_sub_nc_u32_e32 v4, v4, v6
	s_lshr_b32 s2, vcc_lo, 1
	s_delay_alu instid0(VALU_DEP_2) | instid1(SALU_CYCLE_1)
	v_and_b32_e32 v5, s2, v5
	s_mov_b32 s2, exec_lo
	s_delay_alu instid0(VALU_DEP_1) | instskip(SKIP_1) | instid1(VALU_DEP_2)
	v_lshrrev_b32_e32 v5, v6, v5
	v_lshlrev_b32_e32 v6, 2, v4
	v_or_b32_e32 v5, 64, v5
	s_delay_alu instid0(VALU_DEP_2) | instskip(NEXT) | instid1(VALU_DEP_2)
	v_mad_u32_u24 v0, v0, 28, v6
	v_ctz_i32_b32_e32 v5, v5
	s_waitcnt vmcnt(0)
	ds_store_b32 v0, v3
	; wave barrier
	v_cmpx_lt_u32_e64 v4, v5
	s_cbranch_execz .LBB144_2
; %bb.1:
	ds_load_b32 v6, v0 offset:4
	s_waitcnt lgkmcnt(0)
	v_add_nc_u32_e32 v3, v6, v3
.LBB144_2:
	s_or_b32 exec_lo, exec_lo, s2
	v_add_nc_u32_e32 v6, 2, v4
	s_mov_b32 s2, exec_lo
	; wave barrier
	ds_store_b32 v0, v3
	; wave barrier
	v_cmpx_le_u32_e64 v6, v5
	s_cbranch_execz .LBB144_4
; %bb.3:
	ds_load_b32 v6, v0 offset:8
	s_waitcnt lgkmcnt(0)
	v_add_nc_u32_e32 v3, v6, v3
.LBB144_4:
	s_or_b32 exec_lo, exec_lo, s2
	v_add_nc_u32_e32 v4, 4, v4
	s_mov_b32 s2, exec_lo
	; wave barrier
	ds_store_b32 v0, v3
	; wave barrier
	v_cmpx_le_u32_e64 v4, v5
	s_cbranch_execz .LBB144_6
; %bb.5:
	ds_load_b32 v0, v0 offset:16
	s_waitcnt lgkmcnt(0)
	v_add_nc_u32_e32 v3, v0, v3
.LBB144_6:
	s_or_b32 exec_lo, exec_lo, s2
	v_add_co_u32 v0, vcc_lo, s0, v1
	v_add_co_ci_u32_e32 v1, vcc_lo, s1, v2, vcc_lo
	; wave barrier
	global_store_b32 v[0:1], v3, off
	s_nop 0
	s_sendmsg sendmsg(MSG_DEALLOC_VGPRS)
	s_endpgm
	.section	.rodata,"a",@progbits
	.p2align	6, 0x0
	.amdhsa_kernel _Z33head_segmented_warp_reduce_kernelIihLj28ELj7EENSt9enable_ifIXsr10test_utilsE35device_test_enabled_for_warp_size_vIXT2_EEEvE4typeEPT_PT0_S4_
		.amdhsa_group_segment_fixed_size 112
		.amdhsa_private_segment_fixed_size 0
		.amdhsa_kernarg_size 280
		.amdhsa_user_sgpr_count 15
		.amdhsa_user_sgpr_dispatch_ptr 0
		.amdhsa_user_sgpr_queue_ptr 0
		.amdhsa_user_sgpr_kernarg_segment_ptr 1
		.amdhsa_user_sgpr_dispatch_id 0
		.amdhsa_user_sgpr_private_segment_size 0
		.amdhsa_wavefront_size32 1
		.amdhsa_uses_dynamic_stack 0
		.amdhsa_enable_private_segment 0
		.amdhsa_system_sgpr_workgroup_id_x 1
		.amdhsa_system_sgpr_workgroup_id_y 0
		.amdhsa_system_sgpr_workgroup_id_z 0
		.amdhsa_system_sgpr_workgroup_info 0
		.amdhsa_system_vgpr_workitem_id 0
		.amdhsa_next_free_vgpr 7
		.amdhsa_next_free_sgpr 16
		.amdhsa_reserve_vcc 1
		.amdhsa_float_round_mode_32 0
		.amdhsa_float_round_mode_16_64 0
		.amdhsa_float_denorm_mode_32 3
		.amdhsa_float_denorm_mode_16_64 3
		.amdhsa_dx10_clamp 1
		.amdhsa_ieee_mode 1
		.amdhsa_fp16_overflow 0
		.amdhsa_workgroup_processor_mode 1
		.amdhsa_memory_ordered 1
		.amdhsa_forward_progress 0
		.amdhsa_shared_vgpr_count 0
		.amdhsa_exception_fp_ieee_invalid_op 0
		.amdhsa_exception_fp_denorm_src 0
		.amdhsa_exception_fp_ieee_div_zero 0
		.amdhsa_exception_fp_ieee_overflow 0
		.amdhsa_exception_fp_ieee_underflow 0
		.amdhsa_exception_fp_ieee_inexact 0
		.amdhsa_exception_int_div_zero 0
	.end_amdhsa_kernel
	.section	.text._Z33head_segmented_warp_reduce_kernelIihLj28ELj7EENSt9enable_ifIXsr10test_utilsE35device_test_enabled_for_warp_size_vIXT2_EEEvE4typeEPT_PT0_S4_,"axG",@progbits,_Z33head_segmented_warp_reduce_kernelIihLj28ELj7EENSt9enable_ifIXsr10test_utilsE35device_test_enabled_for_warp_size_vIXT2_EEEvE4typeEPT_PT0_S4_,comdat
.Lfunc_end144:
	.size	_Z33head_segmented_warp_reduce_kernelIihLj28ELj7EENSt9enable_ifIXsr10test_utilsE35device_test_enabled_for_warp_size_vIXT2_EEEvE4typeEPT_PT0_S4_, .Lfunc_end144-_Z33head_segmented_warp_reduce_kernelIihLj28ELj7EENSt9enable_ifIXsr10test_utilsE35device_test_enabled_for_warp_size_vIXT2_EEEvE4typeEPT_PT0_S4_
                                        ; -- End function
	.section	.AMDGPU.csdata,"",@progbits
; Kernel info:
; codeLenInByte = 380
; NumSgprs: 18
; NumVgprs: 7
; ScratchSize: 0
; MemoryBound: 0
; FloatMode: 240
; IeeeMode: 1
; LDSByteSize: 112 bytes/workgroup (compile time only)
; SGPRBlocks: 2
; VGPRBlocks: 0
; NumSGPRsForWavesPerEU: 18
; NumVGPRsForWavesPerEU: 7
; Occupancy: 16
; WaveLimiterHint : 0
; COMPUTE_PGM_RSRC2:SCRATCH_EN: 0
; COMPUTE_PGM_RSRC2:USER_SGPR: 15
; COMPUTE_PGM_RSRC2:TRAP_HANDLER: 0
; COMPUTE_PGM_RSRC2:TGID_X_EN: 1
; COMPUTE_PGM_RSRC2:TGID_Y_EN: 0
; COMPUTE_PGM_RSRC2:TGID_Z_EN: 0
; COMPUTE_PGM_RSRC2:TIDIG_COMP_CNT: 0
	.section	.text._Z33head_segmented_warp_reduce_kernelIihLj63ELj7EENSt9enable_ifIXsr10test_utilsE35device_test_enabled_for_warp_size_vIXT2_EEEvE4typeEPT_PT0_S4_,"axG",@progbits,_Z33head_segmented_warp_reduce_kernelIihLj63ELj7EENSt9enable_ifIXsr10test_utilsE35device_test_enabled_for_warp_size_vIXT2_EEEvE4typeEPT_PT0_S4_,comdat
	.protected	_Z33head_segmented_warp_reduce_kernelIihLj63ELj7EENSt9enable_ifIXsr10test_utilsE35device_test_enabled_for_warp_size_vIXT2_EEEvE4typeEPT_PT0_S4_ ; -- Begin function _Z33head_segmented_warp_reduce_kernelIihLj63ELj7EENSt9enable_ifIXsr10test_utilsE35device_test_enabled_for_warp_size_vIXT2_EEEvE4typeEPT_PT0_S4_
	.globl	_Z33head_segmented_warp_reduce_kernelIihLj63ELj7EENSt9enable_ifIXsr10test_utilsE35device_test_enabled_for_warp_size_vIXT2_EEEvE4typeEPT_PT0_S4_
	.p2align	8
	.type	_Z33head_segmented_warp_reduce_kernelIihLj63ELj7EENSt9enable_ifIXsr10test_utilsE35device_test_enabled_for_warp_size_vIXT2_EEEvE4typeEPT_PT0_S4_,@function
_Z33head_segmented_warp_reduce_kernelIihLj63ELj7EENSt9enable_ifIXsr10test_utilsE35device_test_enabled_for_warp_size_vIXT2_EEEvE4typeEPT_PT0_S4_: ; @_Z33head_segmented_warp_reduce_kernelIihLj63ELj7EENSt9enable_ifIXsr10test_utilsE35device_test_enabled_for_warp_size_vIXT2_EEEvE4typeEPT_PT0_S4_
; %bb.0:
	s_clause 0x2
	s_load_b32 s2, s[0:1], 0x24
	s_load_b128 s[4:7], s[0:1], 0x0
	s_load_b64 s[0:1], s[0:1], 0x10
	s_waitcnt lgkmcnt(0)
	s_and_b32 s2, s2, 0xffff
	s_delay_alu instid0(SALU_CYCLE_1) | instskip(SKIP_2) | instid1(VALU_DEP_1)
	v_mad_u64_u32 v[1:2], null, s15, s2, v[0:1]
	v_mov_b32_e32 v2, 0
	v_mul_u32_u24_e32 v0, 0x2493, v0
	v_lshrrev_b32_e32 v0, 16, v0
	global_load_u8 v5, v1, s[6:7]
	v_lshlrev_b64 v[1:2], 2, v[1:2]
	s_delay_alu instid0(VALU_DEP_1) | instskip(NEXT) | instid1(VALU_DEP_2)
	v_add_co_u32 v3, vcc_lo, s4, v1
	v_add_co_ci_u32_e32 v4, vcc_lo, s5, v2, vcc_lo
	global_load_b32 v3, v[3:4], off
	v_mbcnt_lo_u32_b32 v4, -1, 0
	s_delay_alu instid0(VALU_DEP_1) | instskip(NEXT) | instid1(VALU_DEP_1)
	v_mul_hi_u32 v6, 0x24924925, v4
	v_mul_u32_u24_e32 v6, 7, v6
	s_waitcnt vmcnt(1)
	v_cmp_ne_u16_e32 vcc_lo, 0, v5
	v_lshlrev_b32_e64 v5, v4, -1
	s_delay_alu instid0(VALU_DEP_3)
	v_sub_nc_u32_e32 v4, v4, v6
	s_lshr_b32 s2, vcc_lo, 1
	s_delay_alu instid0(VALU_DEP_2) | instid1(SALU_CYCLE_1)
	v_and_b32_e32 v5, s2, v5
	s_mov_b32 s2, exec_lo
	s_delay_alu instid0(VALU_DEP_1) | instskip(SKIP_1) | instid1(VALU_DEP_2)
	v_lshrrev_b32_e32 v5, v6, v5
	v_lshlrev_b32_e32 v6, 2, v4
	v_or_b32_e32 v5, 64, v5
	s_delay_alu instid0(VALU_DEP_2) | instskip(NEXT) | instid1(VALU_DEP_2)
	v_mad_u32_u24 v0, v0, 28, v6
	v_ctz_i32_b32_e32 v5, v5
	s_waitcnt vmcnt(0)
	ds_store_b32 v0, v3
	; wave barrier
	v_cmpx_lt_u32_e64 v4, v5
	s_cbranch_execz .LBB145_2
; %bb.1:
	ds_load_b32 v6, v0 offset:4
	s_waitcnt lgkmcnt(0)
	v_add_nc_u32_e32 v3, v6, v3
.LBB145_2:
	s_or_b32 exec_lo, exec_lo, s2
	v_add_nc_u32_e32 v6, 2, v4
	s_mov_b32 s2, exec_lo
	; wave barrier
	ds_store_b32 v0, v3
	; wave barrier
	v_cmpx_le_u32_e64 v6, v5
	s_cbranch_execz .LBB145_4
; %bb.3:
	ds_load_b32 v6, v0 offset:8
	s_waitcnt lgkmcnt(0)
	v_add_nc_u32_e32 v3, v6, v3
.LBB145_4:
	s_or_b32 exec_lo, exec_lo, s2
	v_add_nc_u32_e32 v4, 4, v4
	s_mov_b32 s2, exec_lo
	; wave barrier
	ds_store_b32 v0, v3
	; wave barrier
	v_cmpx_le_u32_e64 v4, v5
	s_cbranch_execz .LBB145_6
; %bb.5:
	ds_load_b32 v0, v0 offset:16
	s_waitcnt lgkmcnt(0)
	v_add_nc_u32_e32 v3, v0, v3
.LBB145_6:
	s_or_b32 exec_lo, exec_lo, s2
	v_add_co_u32 v0, vcc_lo, s0, v1
	v_add_co_ci_u32_e32 v1, vcc_lo, s1, v2, vcc_lo
	; wave barrier
	global_store_b32 v[0:1], v3, off
	s_nop 0
	s_sendmsg sendmsg(MSG_DEALLOC_VGPRS)
	s_endpgm
	.section	.rodata,"a",@progbits
	.p2align	6, 0x0
	.amdhsa_kernel _Z33head_segmented_warp_reduce_kernelIihLj63ELj7EENSt9enable_ifIXsr10test_utilsE35device_test_enabled_for_warp_size_vIXT2_EEEvE4typeEPT_PT0_S4_
		.amdhsa_group_segment_fixed_size 252
		.amdhsa_private_segment_fixed_size 0
		.amdhsa_kernarg_size 280
		.amdhsa_user_sgpr_count 15
		.amdhsa_user_sgpr_dispatch_ptr 0
		.amdhsa_user_sgpr_queue_ptr 0
		.amdhsa_user_sgpr_kernarg_segment_ptr 1
		.amdhsa_user_sgpr_dispatch_id 0
		.amdhsa_user_sgpr_private_segment_size 0
		.amdhsa_wavefront_size32 1
		.amdhsa_uses_dynamic_stack 0
		.amdhsa_enable_private_segment 0
		.amdhsa_system_sgpr_workgroup_id_x 1
		.amdhsa_system_sgpr_workgroup_id_y 0
		.amdhsa_system_sgpr_workgroup_id_z 0
		.amdhsa_system_sgpr_workgroup_info 0
		.amdhsa_system_vgpr_workitem_id 0
		.amdhsa_next_free_vgpr 7
		.amdhsa_next_free_sgpr 16
		.amdhsa_reserve_vcc 1
		.amdhsa_float_round_mode_32 0
		.amdhsa_float_round_mode_16_64 0
		.amdhsa_float_denorm_mode_32 3
		.amdhsa_float_denorm_mode_16_64 3
		.amdhsa_dx10_clamp 1
		.amdhsa_ieee_mode 1
		.amdhsa_fp16_overflow 0
		.amdhsa_workgroup_processor_mode 1
		.amdhsa_memory_ordered 1
		.amdhsa_forward_progress 0
		.amdhsa_shared_vgpr_count 0
		.amdhsa_exception_fp_ieee_invalid_op 0
		.amdhsa_exception_fp_denorm_src 0
		.amdhsa_exception_fp_ieee_div_zero 0
		.amdhsa_exception_fp_ieee_overflow 0
		.amdhsa_exception_fp_ieee_underflow 0
		.amdhsa_exception_fp_ieee_inexact 0
		.amdhsa_exception_int_div_zero 0
	.end_amdhsa_kernel
	.section	.text._Z33head_segmented_warp_reduce_kernelIihLj63ELj7EENSt9enable_ifIXsr10test_utilsE35device_test_enabled_for_warp_size_vIXT2_EEEvE4typeEPT_PT0_S4_,"axG",@progbits,_Z33head_segmented_warp_reduce_kernelIihLj63ELj7EENSt9enable_ifIXsr10test_utilsE35device_test_enabled_for_warp_size_vIXT2_EEEvE4typeEPT_PT0_S4_,comdat
.Lfunc_end145:
	.size	_Z33head_segmented_warp_reduce_kernelIihLj63ELj7EENSt9enable_ifIXsr10test_utilsE35device_test_enabled_for_warp_size_vIXT2_EEEvE4typeEPT_PT0_S4_, .Lfunc_end145-_Z33head_segmented_warp_reduce_kernelIihLj63ELj7EENSt9enable_ifIXsr10test_utilsE35device_test_enabled_for_warp_size_vIXT2_EEEvE4typeEPT_PT0_S4_
                                        ; -- End function
	.section	.AMDGPU.csdata,"",@progbits
; Kernel info:
; codeLenInByte = 380
; NumSgprs: 18
; NumVgprs: 7
; ScratchSize: 0
; MemoryBound: 0
; FloatMode: 240
; IeeeMode: 1
; LDSByteSize: 252 bytes/workgroup (compile time only)
; SGPRBlocks: 2
; VGPRBlocks: 0
; NumSGPRsForWavesPerEU: 18
; NumVGPRsForWavesPerEU: 7
; Occupancy: 16
; WaveLimiterHint : 0
; COMPUTE_PGM_RSRC2:SCRATCH_EN: 0
; COMPUTE_PGM_RSRC2:USER_SGPR: 15
; COMPUTE_PGM_RSRC2:TRAP_HANDLER: 0
; COMPUTE_PGM_RSRC2:TGID_X_EN: 1
; COMPUTE_PGM_RSRC2:TGID_Y_EN: 0
; COMPUTE_PGM_RSRC2:TGID_Z_EN: 0
; COMPUTE_PGM_RSRC2:TIDIG_COMP_CNT: 0
	.section	.text._Z33head_segmented_warp_reduce_kernelIihLj30ELj3EENSt9enable_ifIXsr10test_utilsE35device_test_enabled_for_warp_size_vIXT2_EEEvE4typeEPT_PT0_S4_,"axG",@progbits,_Z33head_segmented_warp_reduce_kernelIihLj30ELj3EENSt9enable_ifIXsr10test_utilsE35device_test_enabled_for_warp_size_vIXT2_EEEvE4typeEPT_PT0_S4_,comdat
	.protected	_Z33head_segmented_warp_reduce_kernelIihLj30ELj3EENSt9enable_ifIXsr10test_utilsE35device_test_enabled_for_warp_size_vIXT2_EEEvE4typeEPT_PT0_S4_ ; -- Begin function _Z33head_segmented_warp_reduce_kernelIihLj30ELj3EENSt9enable_ifIXsr10test_utilsE35device_test_enabled_for_warp_size_vIXT2_EEEvE4typeEPT_PT0_S4_
	.globl	_Z33head_segmented_warp_reduce_kernelIihLj30ELj3EENSt9enable_ifIXsr10test_utilsE35device_test_enabled_for_warp_size_vIXT2_EEEvE4typeEPT_PT0_S4_
	.p2align	8
	.type	_Z33head_segmented_warp_reduce_kernelIihLj30ELj3EENSt9enable_ifIXsr10test_utilsE35device_test_enabled_for_warp_size_vIXT2_EEEvE4typeEPT_PT0_S4_,@function
_Z33head_segmented_warp_reduce_kernelIihLj30ELj3EENSt9enable_ifIXsr10test_utilsE35device_test_enabled_for_warp_size_vIXT2_EEEvE4typeEPT_PT0_S4_: ; @_Z33head_segmented_warp_reduce_kernelIihLj30ELj3EENSt9enable_ifIXsr10test_utilsE35device_test_enabled_for_warp_size_vIXT2_EEEvE4typeEPT_PT0_S4_
; %bb.0:
	s_clause 0x2
	s_load_b32 s2, s[0:1], 0x24
	s_load_b128 s[4:7], s[0:1], 0x0
	s_load_b64 s[0:1], s[0:1], 0x10
	s_waitcnt lgkmcnt(0)
	s_and_b32 s2, s2, 0xffff
	s_delay_alu instid0(SALU_CYCLE_1) | instskip(SKIP_2) | instid1(VALU_DEP_1)
	v_mad_u64_u32 v[1:2], null, s15, s2, v[0:1]
	v_mov_b32_e32 v2, 0
	v_mul_u32_u24_e32 v0, 0x5556, v0
	v_lshrrev_b32_e32 v0, 16, v0
	global_load_u8 v5, v1, s[6:7]
	v_lshlrev_b64 v[1:2], 2, v[1:2]
	s_delay_alu instid0(VALU_DEP_1) | instskip(NEXT) | instid1(VALU_DEP_2)
	v_add_co_u32 v3, vcc_lo, s4, v1
	v_add_co_ci_u32_e32 v4, vcc_lo, s5, v2, vcc_lo
	global_load_b32 v3, v[3:4], off
	v_mbcnt_lo_u32_b32 v4, -1, 0
	s_delay_alu instid0(VALU_DEP_1) | instskip(NEXT) | instid1(VALU_DEP_1)
	v_mul_hi_u32 v6, 0x55555556, v4
	v_mul_u32_u24_e32 v6, 3, v6
	s_waitcnt vmcnt(1)
	v_cmp_ne_u16_e32 vcc_lo, 0, v5
	v_lshlrev_b32_e64 v5, v4, -1
	s_delay_alu instid0(VALU_DEP_3)
	v_sub_nc_u32_e32 v4, v4, v6
	s_lshr_b32 s2, vcc_lo, 1
	s_delay_alu instid0(VALU_DEP_2) | instid1(SALU_CYCLE_1)
	v_and_b32_e32 v5, s2, v5
	s_mov_b32 s2, exec_lo
	s_delay_alu instid0(VALU_DEP_1) | instskip(SKIP_1) | instid1(VALU_DEP_2)
	v_lshrrev_b32_e32 v5, v6, v5
	v_lshlrev_b32_e32 v6, 2, v4
	v_or_b32_e32 v5, 4, v5
	s_delay_alu instid0(VALU_DEP_2) | instskip(NEXT) | instid1(VALU_DEP_2)
	v_mad_u32_u24 v0, v0, 12, v6
	v_ctz_i32_b32_e32 v5, v5
	s_waitcnt vmcnt(0)
	ds_store_b32 v0, v3
	; wave barrier
	v_cmpx_lt_u32_e64 v4, v5
	s_cbranch_execz .LBB146_2
; %bb.1:
	ds_load_b32 v6, v0 offset:4
	s_waitcnt lgkmcnt(0)
	v_add_nc_u32_e32 v3, v6, v3
.LBB146_2:
	s_or_b32 exec_lo, exec_lo, s2
	v_add_nc_u32_e32 v4, 2, v4
	s_mov_b32 s2, exec_lo
	; wave barrier
	ds_store_b32 v0, v3
	; wave barrier
	v_cmpx_le_u32_e64 v4, v5
	s_cbranch_execz .LBB146_4
; %bb.3:
	ds_load_b32 v0, v0 offset:8
	s_waitcnt lgkmcnt(0)
	v_add_nc_u32_e32 v3, v0, v3
.LBB146_4:
	s_or_b32 exec_lo, exec_lo, s2
	v_add_co_u32 v0, vcc_lo, s0, v1
	v_add_co_ci_u32_e32 v1, vcc_lo, s1, v2, vcc_lo
	; wave barrier
	global_store_b32 v[0:1], v3, off
	s_nop 0
	s_sendmsg sendmsg(MSG_DEALLOC_VGPRS)
	s_endpgm
	.section	.rodata,"a",@progbits
	.p2align	6, 0x0
	.amdhsa_kernel _Z33head_segmented_warp_reduce_kernelIihLj30ELj3EENSt9enable_ifIXsr10test_utilsE35device_test_enabled_for_warp_size_vIXT2_EEEvE4typeEPT_PT0_S4_
		.amdhsa_group_segment_fixed_size 120
		.amdhsa_private_segment_fixed_size 0
		.amdhsa_kernarg_size 280
		.amdhsa_user_sgpr_count 15
		.amdhsa_user_sgpr_dispatch_ptr 0
		.amdhsa_user_sgpr_queue_ptr 0
		.amdhsa_user_sgpr_kernarg_segment_ptr 1
		.amdhsa_user_sgpr_dispatch_id 0
		.amdhsa_user_sgpr_private_segment_size 0
		.amdhsa_wavefront_size32 1
		.amdhsa_uses_dynamic_stack 0
		.amdhsa_enable_private_segment 0
		.amdhsa_system_sgpr_workgroup_id_x 1
		.amdhsa_system_sgpr_workgroup_id_y 0
		.amdhsa_system_sgpr_workgroup_id_z 0
		.amdhsa_system_sgpr_workgroup_info 0
		.amdhsa_system_vgpr_workitem_id 0
		.amdhsa_next_free_vgpr 7
		.amdhsa_next_free_sgpr 16
		.amdhsa_reserve_vcc 1
		.amdhsa_float_round_mode_32 0
		.amdhsa_float_round_mode_16_64 0
		.amdhsa_float_denorm_mode_32 3
		.amdhsa_float_denorm_mode_16_64 3
		.amdhsa_dx10_clamp 1
		.amdhsa_ieee_mode 1
		.amdhsa_fp16_overflow 0
		.amdhsa_workgroup_processor_mode 1
		.amdhsa_memory_ordered 1
		.amdhsa_forward_progress 0
		.amdhsa_shared_vgpr_count 0
		.amdhsa_exception_fp_ieee_invalid_op 0
		.amdhsa_exception_fp_denorm_src 0
		.amdhsa_exception_fp_ieee_div_zero 0
		.amdhsa_exception_fp_ieee_overflow 0
		.amdhsa_exception_fp_ieee_underflow 0
		.amdhsa_exception_fp_ieee_inexact 0
		.amdhsa_exception_int_div_zero 0
	.end_amdhsa_kernel
	.section	.text._Z33head_segmented_warp_reduce_kernelIihLj30ELj3EENSt9enable_ifIXsr10test_utilsE35device_test_enabled_for_warp_size_vIXT2_EEEvE4typeEPT_PT0_S4_,"axG",@progbits,_Z33head_segmented_warp_reduce_kernelIihLj30ELj3EENSt9enable_ifIXsr10test_utilsE35device_test_enabled_for_warp_size_vIXT2_EEEvE4typeEPT_PT0_S4_,comdat
.Lfunc_end146:
	.size	_Z33head_segmented_warp_reduce_kernelIihLj30ELj3EENSt9enable_ifIXsr10test_utilsE35device_test_enabled_for_warp_size_vIXT2_EEEvE4typeEPT_PT0_S4_, .Lfunc_end146-_Z33head_segmented_warp_reduce_kernelIihLj30ELj3EENSt9enable_ifIXsr10test_utilsE35device_test_enabled_for_warp_size_vIXT2_EEEvE4typeEPT_PT0_S4_
                                        ; -- End function
	.section	.AMDGPU.csdata,"",@progbits
; Kernel info:
; codeLenInByte = 332
; NumSgprs: 18
; NumVgprs: 7
; ScratchSize: 0
; MemoryBound: 0
; FloatMode: 240
; IeeeMode: 1
; LDSByteSize: 120 bytes/workgroup (compile time only)
; SGPRBlocks: 2
; VGPRBlocks: 0
; NumSGPRsForWavesPerEU: 18
; NumVGPRsForWavesPerEU: 7
; Occupancy: 16
; WaveLimiterHint : 0
; COMPUTE_PGM_RSRC2:SCRATCH_EN: 0
; COMPUTE_PGM_RSRC2:USER_SGPR: 15
; COMPUTE_PGM_RSRC2:TRAP_HANDLER: 0
; COMPUTE_PGM_RSRC2:TGID_X_EN: 1
; COMPUTE_PGM_RSRC2:TGID_Y_EN: 0
; COMPUTE_PGM_RSRC2:TGID_Z_EN: 0
; COMPUTE_PGM_RSRC2:TIDIG_COMP_CNT: 0
	.section	.text._Z33head_segmented_warp_reduce_kernelIihLj63ELj3EENSt9enable_ifIXsr10test_utilsE35device_test_enabled_for_warp_size_vIXT2_EEEvE4typeEPT_PT0_S4_,"axG",@progbits,_Z33head_segmented_warp_reduce_kernelIihLj63ELj3EENSt9enable_ifIXsr10test_utilsE35device_test_enabled_for_warp_size_vIXT2_EEEvE4typeEPT_PT0_S4_,comdat
	.protected	_Z33head_segmented_warp_reduce_kernelIihLj63ELj3EENSt9enable_ifIXsr10test_utilsE35device_test_enabled_for_warp_size_vIXT2_EEEvE4typeEPT_PT0_S4_ ; -- Begin function _Z33head_segmented_warp_reduce_kernelIihLj63ELj3EENSt9enable_ifIXsr10test_utilsE35device_test_enabled_for_warp_size_vIXT2_EEEvE4typeEPT_PT0_S4_
	.globl	_Z33head_segmented_warp_reduce_kernelIihLj63ELj3EENSt9enable_ifIXsr10test_utilsE35device_test_enabled_for_warp_size_vIXT2_EEEvE4typeEPT_PT0_S4_
	.p2align	8
	.type	_Z33head_segmented_warp_reduce_kernelIihLj63ELj3EENSt9enable_ifIXsr10test_utilsE35device_test_enabled_for_warp_size_vIXT2_EEEvE4typeEPT_PT0_S4_,@function
_Z33head_segmented_warp_reduce_kernelIihLj63ELj3EENSt9enable_ifIXsr10test_utilsE35device_test_enabled_for_warp_size_vIXT2_EEEvE4typeEPT_PT0_S4_: ; @_Z33head_segmented_warp_reduce_kernelIihLj63ELj3EENSt9enable_ifIXsr10test_utilsE35device_test_enabled_for_warp_size_vIXT2_EEEvE4typeEPT_PT0_S4_
; %bb.0:
	s_clause 0x2
	s_load_b32 s2, s[0:1], 0x24
	s_load_b128 s[4:7], s[0:1], 0x0
	s_load_b64 s[0:1], s[0:1], 0x10
	s_waitcnt lgkmcnt(0)
	s_and_b32 s2, s2, 0xffff
	s_delay_alu instid0(SALU_CYCLE_1) | instskip(SKIP_2) | instid1(VALU_DEP_1)
	v_mad_u64_u32 v[1:2], null, s15, s2, v[0:1]
	v_mov_b32_e32 v2, 0
	v_mul_u32_u24_e32 v0, 0x5556, v0
	v_lshrrev_b32_e32 v0, 16, v0
	global_load_u8 v5, v1, s[6:7]
	v_lshlrev_b64 v[1:2], 2, v[1:2]
	s_delay_alu instid0(VALU_DEP_1) | instskip(NEXT) | instid1(VALU_DEP_2)
	v_add_co_u32 v3, vcc_lo, s4, v1
	v_add_co_ci_u32_e32 v4, vcc_lo, s5, v2, vcc_lo
	global_load_b32 v3, v[3:4], off
	v_mbcnt_lo_u32_b32 v4, -1, 0
	s_delay_alu instid0(VALU_DEP_1) | instskip(NEXT) | instid1(VALU_DEP_1)
	v_mul_hi_u32 v6, 0x55555556, v4
	v_mul_u32_u24_e32 v6, 3, v6
	s_waitcnt vmcnt(1)
	v_cmp_ne_u16_e32 vcc_lo, 0, v5
	v_lshlrev_b32_e64 v5, v4, -1
	s_delay_alu instid0(VALU_DEP_3)
	v_sub_nc_u32_e32 v4, v4, v6
	s_lshr_b32 s2, vcc_lo, 1
	s_delay_alu instid0(VALU_DEP_2) | instid1(SALU_CYCLE_1)
	v_and_b32_e32 v5, s2, v5
	s_mov_b32 s2, exec_lo
	s_delay_alu instid0(VALU_DEP_1) | instskip(SKIP_1) | instid1(VALU_DEP_2)
	v_lshrrev_b32_e32 v5, v6, v5
	v_lshlrev_b32_e32 v6, 2, v4
	v_or_b32_e32 v5, 4, v5
	s_delay_alu instid0(VALU_DEP_2) | instskip(NEXT) | instid1(VALU_DEP_2)
	v_mad_u32_u24 v0, v0, 12, v6
	v_ctz_i32_b32_e32 v5, v5
	s_waitcnt vmcnt(0)
	ds_store_b32 v0, v3
	; wave barrier
	v_cmpx_lt_u32_e64 v4, v5
	s_cbranch_execz .LBB147_2
; %bb.1:
	ds_load_b32 v6, v0 offset:4
	s_waitcnt lgkmcnt(0)
	v_add_nc_u32_e32 v3, v6, v3
.LBB147_2:
	s_or_b32 exec_lo, exec_lo, s2
	v_add_nc_u32_e32 v4, 2, v4
	s_mov_b32 s2, exec_lo
	; wave barrier
	ds_store_b32 v0, v3
	; wave barrier
	v_cmpx_le_u32_e64 v4, v5
	s_cbranch_execz .LBB147_4
; %bb.3:
	ds_load_b32 v0, v0 offset:8
	s_waitcnt lgkmcnt(0)
	v_add_nc_u32_e32 v3, v0, v3
.LBB147_4:
	s_or_b32 exec_lo, exec_lo, s2
	v_add_co_u32 v0, vcc_lo, s0, v1
	v_add_co_ci_u32_e32 v1, vcc_lo, s1, v2, vcc_lo
	; wave barrier
	global_store_b32 v[0:1], v3, off
	s_nop 0
	s_sendmsg sendmsg(MSG_DEALLOC_VGPRS)
	s_endpgm
	.section	.rodata,"a",@progbits
	.p2align	6, 0x0
	.amdhsa_kernel _Z33head_segmented_warp_reduce_kernelIihLj63ELj3EENSt9enable_ifIXsr10test_utilsE35device_test_enabled_for_warp_size_vIXT2_EEEvE4typeEPT_PT0_S4_
		.amdhsa_group_segment_fixed_size 252
		.amdhsa_private_segment_fixed_size 0
		.amdhsa_kernarg_size 280
		.amdhsa_user_sgpr_count 15
		.amdhsa_user_sgpr_dispatch_ptr 0
		.amdhsa_user_sgpr_queue_ptr 0
		.amdhsa_user_sgpr_kernarg_segment_ptr 1
		.amdhsa_user_sgpr_dispatch_id 0
		.amdhsa_user_sgpr_private_segment_size 0
		.amdhsa_wavefront_size32 1
		.amdhsa_uses_dynamic_stack 0
		.amdhsa_enable_private_segment 0
		.amdhsa_system_sgpr_workgroup_id_x 1
		.amdhsa_system_sgpr_workgroup_id_y 0
		.amdhsa_system_sgpr_workgroup_id_z 0
		.amdhsa_system_sgpr_workgroup_info 0
		.amdhsa_system_vgpr_workitem_id 0
		.amdhsa_next_free_vgpr 7
		.amdhsa_next_free_sgpr 16
		.amdhsa_reserve_vcc 1
		.amdhsa_float_round_mode_32 0
		.amdhsa_float_round_mode_16_64 0
		.amdhsa_float_denorm_mode_32 3
		.amdhsa_float_denorm_mode_16_64 3
		.amdhsa_dx10_clamp 1
		.amdhsa_ieee_mode 1
		.amdhsa_fp16_overflow 0
		.amdhsa_workgroup_processor_mode 1
		.amdhsa_memory_ordered 1
		.amdhsa_forward_progress 0
		.amdhsa_shared_vgpr_count 0
		.amdhsa_exception_fp_ieee_invalid_op 0
		.amdhsa_exception_fp_denorm_src 0
		.amdhsa_exception_fp_ieee_div_zero 0
		.amdhsa_exception_fp_ieee_overflow 0
		.amdhsa_exception_fp_ieee_underflow 0
		.amdhsa_exception_fp_ieee_inexact 0
		.amdhsa_exception_int_div_zero 0
	.end_amdhsa_kernel
	.section	.text._Z33head_segmented_warp_reduce_kernelIihLj63ELj3EENSt9enable_ifIXsr10test_utilsE35device_test_enabled_for_warp_size_vIXT2_EEEvE4typeEPT_PT0_S4_,"axG",@progbits,_Z33head_segmented_warp_reduce_kernelIihLj63ELj3EENSt9enable_ifIXsr10test_utilsE35device_test_enabled_for_warp_size_vIXT2_EEEvE4typeEPT_PT0_S4_,comdat
.Lfunc_end147:
	.size	_Z33head_segmented_warp_reduce_kernelIihLj63ELj3EENSt9enable_ifIXsr10test_utilsE35device_test_enabled_for_warp_size_vIXT2_EEEvE4typeEPT_PT0_S4_, .Lfunc_end147-_Z33head_segmented_warp_reduce_kernelIihLj63ELj3EENSt9enable_ifIXsr10test_utilsE35device_test_enabled_for_warp_size_vIXT2_EEEvE4typeEPT_PT0_S4_
                                        ; -- End function
	.section	.AMDGPU.csdata,"",@progbits
; Kernel info:
; codeLenInByte = 332
; NumSgprs: 18
; NumVgprs: 7
; ScratchSize: 0
; MemoryBound: 0
; FloatMode: 240
; IeeeMode: 1
; LDSByteSize: 252 bytes/workgroup (compile time only)
; SGPRBlocks: 2
; VGPRBlocks: 0
; NumSGPRsForWavesPerEU: 18
; NumVGPRsForWavesPerEU: 7
; Occupancy: 16
; WaveLimiterHint : 0
; COMPUTE_PGM_RSRC2:SCRATCH_EN: 0
; COMPUTE_PGM_RSRC2:USER_SGPR: 15
; COMPUTE_PGM_RSRC2:TRAP_HANDLER: 0
; COMPUTE_PGM_RSRC2:TGID_X_EN: 1
; COMPUTE_PGM_RSRC2:TGID_Y_EN: 0
; COMPUTE_PGM_RSRC2:TGID_Z_EN: 0
; COMPUTE_PGM_RSRC2:TIDIG_COMP_CNT: 0
	.section	.text._Z33head_segmented_warp_reduce_kernelI12hip_bfloat16hLj256ELj64EENSt9enable_ifIXntsr10test_utilsE35device_test_enabled_for_warp_size_vIXT2_EEEvE4typeEPT_PT0_S5_,"axG",@progbits,_Z33head_segmented_warp_reduce_kernelI12hip_bfloat16hLj256ELj64EENSt9enable_ifIXntsr10test_utilsE35device_test_enabled_for_warp_size_vIXT2_EEEvE4typeEPT_PT0_S5_,comdat
	.protected	_Z33head_segmented_warp_reduce_kernelI12hip_bfloat16hLj256ELj64EENSt9enable_ifIXntsr10test_utilsE35device_test_enabled_for_warp_size_vIXT2_EEEvE4typeEPT_PT0_S5_ ; -- Begin function _Z33head_segmented_warp_reduce_kernelI12hip_bfloat16hLj256ELj64EENSt9enable_ifIXntsr10test_utilsE35device_test_enabled_for_warp_size_vIXT2_EEEvE4typeEPT_PT0_S5_
	.globl	_Z33head_segmented_warp_reduce_kernelI12hip_bfloat16hLj256ELj64EENSt9enable_ifIXntsr10test_utilsE35device_test_enabled_for_warp_size_vIXT2_EEEvE4typeEPT_PT0_S5_
	.p2align	8
	.type	_Z33head_segmented_warp_reduce_kernelI12hip_bfloat16hLj256ELj64EENSt9enable_ifIXntsr10test_utilsE35device_test_enabled_for_warp_size_vIXT2_EEEvE4typeEPT_PT0_S5_,@function
_Z33head_segmented_warp_reduce_kernelI12hip_bfloat16hLj256ELj64EENSt9enable_ifIXntsr10test_utilsE35device_test_enabled_for_warp_size_vIXT2_EEEvE4typeEPT_PT0_S5_: ; @_Z33head_segmented_warp_reduce_kernelI12hip_bfloat16hLj256ELj64EENSt9enable_ifIXntsr10test_utilsE35device_test_enabled_for_warp_size_vIXT2_EEEvE4typeEPT_PT0_S5_
; %bb.0:
	s_endpgm
	.section	.rodata,"a",@progbits
	.p2align	6, 0x0
	.amdhsa_kernel _Z33head_segmented_warp_reduce_kernelI12hip_bfloat16hLj256ELj64EENSt9enable_ifIXntsr10test_utilsE35device_test_enabled_for_warp_size_vIXT2_EEEvE4typeEPT_PT0_S5_
		.amdhsa_group_segment_fixed_size 0
		.amdhsa_private_segment_fixed_size 0
		.amdhsa_kernarg_size 24
		.amdhsa_user_sgpr_count 15
		.amdhsa_user_sgpr_dispatch_ptr 0
		.amdhsa_user_sgpr_queue_ptr 0
		.amdhsa_user_sgpr_kernarg_segment_ptr 1
		.amdhsa_user_sgpr_dispatch_id 0
		.amdhsa_user_sgpr_private_segment_size 0
		.amdhsa_wavefront_size32 1
		.amdhsa_uses_dynamic_stack 0
		.amdhsa_enable_private_segment 0
		.amdhsa_system_sgpr_workgroup_id_x 1
		.amdhsa_system_sgpr_workgroup_id_y 0
		.amdhsa_system_sgpr_workgroup_id_z 0
		.amdhsa_system_sgpr_workgroup_info 0
		.amdhsa_system_vgpr_workitem_id 0
		.amdhsa_next_free_vgpr 1
		.amdhsa_next_free_sgpr 1
		.amdhsa_reserve_vcc 0
		.amdhsa_float_round_mode_32 0
		.amdhsa_float_round_mode_16_64 0
		.amdhsa_float_denorm_mode_32 3
		.amdhsa_float_denorm_mode_16_64 3
		.amdhsa_dx10_clamp 1
		.amdhsa_ieee_mode 1
		.amdhsa_fp16_overflow 0
		.amdhsa_workgroup_processor_mode 1
		.amdhsa_memory_ordered 1
		.amdhsa_forward_progress 0
		.amdhsa_shared_vgpr_count 0
		.amdhsa_exception_fp_ieee_invalid_op 0
		.amdhsa_exception_fp_denorm_src 0
		.amdhsa_exception_fp_ieee_div_zero 0
		.amdhsa_exception_fp_ieee_overflow 0
		.amdhsa_exception_fp_ieee_underflow 0
		.amdhsa_exception_fp_ieee_inexact 0
		.amdhsa_exception_int_div_zero 0
	.end_amdhsa_kernel
	.section	.text._Z33head_segmented_warp_reduce_kernelI12hip_bfloat16hLj256ELj64EENSt9enable_ifIXntsr10test_utilsE35device_test_enabled_for_warp_size_vIXT2_EEEvE4typeEPT_PT0_S5_,"axG",@progbits,_Z33head_segmented_warp_reduce_kernelI12hip_bfloat16hLj256ELj64EENSt9enable_ifIXntsr10test_utilsE35device_test_enabled_for_warp_size_vIXT2_EEEvE4typeEPT_PT0_S5_,comdat
.Lfunc_end148:
	.size	_Z33head_segmented_warp_reduce_kernelI12hip_bfloat16hLj256ELj64EENSt9enable_ifIXntsr10test_utilsE35device_test_enabled_for_warp_size_vIXT2_EEEvE4typeEPT_PT0_S5_, .Lfunc_end148-_Z33head_segmented_warp_reduce_kernelI12hip_bfloat16hLj256ELj64EENSt9enable_ifIXntsr10test_utilsE35device_test_enabled_for_warp_size_vIXT2_EEEvE4typeEPT_PT0_S5_
                                        ; -- End function
	.section	.AMDGPU.csdata,"",@progbits
; Kernel info:
; codeLenInByte = 4
; NumSgprs: 0
; NumVgprs: 0
; ScratchSize: 0
; MemoryBound: 0
; FloatMode: 240
; IeeeMode: 1
; LDSByteSize: 0 bytes/workgroup (compile time only)
; SGPRBlocks: 0
; VGPRBlocks: 0
; NumSGPRsForWavesPerEU: 1
; NumVGPRsForWavesPerEU: 1
; Occupancy: 16
; WaveLimiterHint : 0
; COMPUTE_PGM_RSRC2:SCRATCH_EN: 0
; COMPUTE_PGM_RSRC2:USER_SGPR: 15
; COMPUTE_PGM_RSRC2:TRAP_HANDLER: 0
; COMPUTE_PGM_RSRC2:TGID_X_EN: 1
; COMPUTE_PGM_RSRC2:TGID_Y_EN: 0
; COMPUTE_PGM_RSRC2:TGID_Z_EN: 0
; COMPUTE_PGM_RSRC2:TIDIG_COMP_CNT: 0
	.section	.text._Z33head_segmented_warp_reduce_kernelI12hip_bfloat16hLj128ELj32EENSt9enable_ifIXsr10test_utilsE35device_test_enabled_for_warp_size_vIXT2_EEEvE4typeEPT_PT0_S5_,"axG",@progbits,_Z33head_segmented_warp_reduce_kernelI12hip_bfloat16hLj128ELj32EENSt9enable_ifIXsr10test_utilsE35device_test_enabled_for_warp_size_vIXT2_EEEvE4typeEPT_PT0_S5_,comdat
	.protected	_Z33head_segmented_warp_reduce_kernelI12hip_bfloat16hLj128ELj32EENSt9enable_ifIXsr10test_utilsE35device_test_enabled_for_warp_size_vIXT2_EEEvE4typeEPT_PT0_S5_ ; -- Begin function _Z33head_segmented_warp_reduce_kernelI12hip_bfloat16hLj128ELj32EENSt9enable_ifIXsr10test_utilsE35device_test_enabled_for_warp_size_vIXT2_EEEvE4typeEPT_PT0_S5_
	.globl	_Z33head_segmented_warp_reduce_kernelI12hip_bfloat16hLj128ELj32EENSt9enable_ifIXsr10test_utilsE35device_test_enabled_for_warp_size_vIXT2_EEEvE4typeEPT_PT0_S5_
	.p2align	8
	.type	_Z33head_segmented_warp_reduce_kernelI12hip_bfloat16hLj128ELj32EENSt9enable_ifIXsr10test_utilsE35device_test_enabled_for_warp_size_vIXT2_EEEvE4typeEPT_PT0_S5_,@function
_Z33head_segmented_warp_reduce_kernelI12hip_bfloat16hLj128ELj32EENSt9enable_ifIXsr10test_utilsE35device_test_enabled_for_warp_size_vIXT2_EEEvE4typeEPT_PT0_S5_: ; @_Z33head_segmented_warp_reduce_kernelI12hip_bfloat16hLj128ELj32EENSt9enable_ifIXsr10test_utilsE35device_test_enabled_for_warp_size_vIXT2_EEEvE4typeEPT_PT0_S5_
; %bb.0:
	s_clause 0x2
	s_load_b32 s2, s[0:1], 0x24
	s_load_b128 s[4:7], s[0:1], 0x0
	s_load_b64 s[0:1], s[0:1], 0x10
	s_waitcnt lgkmcnt(0)
	s_and_b32 s2, s2, 0xffff
	s_delay_alu instid0(SALU_CYCLE_1) | instskip(SKIP_1) | instid1(VALU_DEP_1)
	v_mad_u64_u32 v[2:3], null, s15, s2, v[0:1]
	v_mov_b32_e32 v3, 0
	v_lshlrev_b64 v[0:1], 1, v[2:3]
	s_delay_alu instid0(VALU_DEP_1) | instskip(NEXT) | instid1(VALU_DEP_2)
	v_add_co_u32 v3, vcc_lo, s4, v0
	v_add_co_ci_u32_e32 v4, vcc_lo, s5, v1, vcc_lo
	global_load_u16 v4, v[3:4], off
	global_load_u8 v3, v2, s[6:7]
	v_mbcnt_lo_u32_b32 v2, -1, 0
	s_delay_alu instid0(VALU_DEP_1) | instskip(SKIP_2) | instid1(VALU_DEP_1)
	v_cmp_ne_u32_e32 vcc_lo, 31, v2
	v_add_nc_u32_e32 v7, 1, v2
	v_add_co_ci_u32_e32 v6, vcc_lo, 0, v2, vcc_lo
	v_lshlrev_b32_e32 v6, 2, v6
	s_waitcnt vmcnt(1)
	v_and_b32_e32 v5, 0xffff, v4
	s_waitcnt vmcnt(0)
	v_cmp_ne_u16_e32 vcc_lo, 0, v3
	v_lshlrev_b32_e64 v3, v2, -1
	ds_bpermute_b32 v6, v6, v5
	s_lshr_b32 s2, vcc_lo, 1
	s_delay_alu instid0(SALU_CYCLE_1) | instskip(SKIP_1) | instid1(VALU_DEP_1)
	v_and_or_b32 v3, v3, s2, 0x80000000
	s_mov_b32 s2, exec_lo
	v_ctz_i32_b32_e32 v3, v3
	s_delay_alu instid0(VALU_DEP_1)
	v_cmpx_le_u32_e64 v7, v3
	s_cbranch_execz .LBB149_6
; %bb.1:
	v_lshlrev_b32_e32 v4, 16, v5
	s_waitcnt lgkmcnt(0)
	v_lshlrev_b32_e32 v5, 16, v6
	s_delay_alu instid0(VALU_DEP_1) | instskip(NEXT) | instid1(VALU_DEP_1)
	v_add_f32_e32 v4, v4, v5
	v_and_b32_e32 v5, 0x7f800000, v4
	s_delay_alu instid0(VALU_DEP_1) | instskip(SKIP_1) | instid1(SALU_CYCLE_1)
	v_cmp_ne_u32_e32 vcc_lo, 0x7f800000, v5
                                        ; implicit-def: $vgpr5
	s_and_saveexec_b32 s3, vcc_lo
	s_xor_b32 s3, exec_lo, s3
; %bb.2:
	v_bfe_u32 v5, v4, 16, 1
	s_delay_alu instid0(VALU_DEP_1)
	v_add3_u32 v5, v4, v5, 0x7fff
                                        ; implicit-def: $vgpr4
; %bb.3:
	s_and_not1_saveexec_b32 s3, s3
; %bb.4:
	v_and_b32_e32 v5, 0xffff, v4
	v_or_b32_e32 v6, 0x10000, v4
	s_delay_alu instid0(VALU_DEP_2) | instskip(NEXT) | instid1(VALU_DEP_2)
	v_cmp_eq_u32_e32 vcc_lo, 0, v5
	v_cndmask_b32_e32 v5, v6, v4, vcc_lo
; %bb.5:
	s_or_b32 exec_lo, exec_lo, s3
	s_delay_alu instid0(VALU_DEP_1) | instskip(NEXT) | instid1(VALU_DEP_1)
	v_lshrrev_b32_e32 v5, 16, v5
	v_mov_b32_e32 v4, v5
.LBB149_6:
	s_or_b32 exec_lo, exec_lo, s2
	v_cmp_gt_u32_e32 vcc_lo, 30, v2
	v_add_nc_u32_e32 v7, 2, v2
	s_mov_b32 s2, exec_lo
	s_waitcnt lgkmcnt(0)
	v_cndmask_b32_e64 v6, 0, 1, vcc_lo
	s_delay_alu instid0(VALU_DEP_1) | instskip(NEXT) | instid1(VALU_DEP_1)
	v_lshlrev_b32_e32 v6, 1, v6
	v_add_lshl_u32 v6, v6, v2, 2
	ds_bpermute_b32 v6, v6, v5
	v_cmpx_le_u32_e64 v7, v3
	s_cbranch_execz .LBB149_12
; %bb.7:
	v_lshlrev_b32_e32 v4, 16, v5
	s_waitcnt lgkmcnt(0)
	v_lshlrev_b32_e32 v5, 16, v6
	s_delay_alu instid0(VALU_DEP_1) | instskip(NEXT) | instid1(VALU_DEP_1)
	v_add_f32_e32 v4, v4, v5
	v_and_b32_e32 v5, 0x7f800000, v4
	s_delay_alu instid0(VALU_DEP_1) | instskip(SKIP_1) | instid1(SALU_CYCLE_1)
	v_cmp_ne_u32_e32 vcc_lo, 0x7f800000, v5
                                        ; implicit-def: $vgpr5
	s_and_saveexec_b32 s3, vcc_lo
	s_xor_b32 s3, exec_lo, s3
; %bb.8:
	v_bfe_u32 v5, v4, 16, 1
	s_delay_alu instid0(VALU_DEP_1)
	v_add3_u32 v5, v4, v5, 0x7fff
                                        ; implicit-def: $vgpr4
; %bb.9:
	s_and_not1_saveexec_b32 s3, s3
; %bb.10:
	v_and_b32_e32 v5, 0xffff, v4
	v_or_b32_e32 v6, 0x10000, v4
	s_delay_alu instid0(VALU_DEP_2) | instskip(NEXT) | instid1(VALU_DEP_2)
	v_cmp_eq_u32_e32 vcc_lo, 0, v5
	v_cndmask_b32_e32 v5, v6, v4, vcc_lo
; %bb.11:
	s_or_b32 exec_lo, exec_lo, s3
	s_delay_alu instid0(VALU_DEP_1) | instskip(NEXT) | instid1(VALU_DEP_1)
	v_lshrrev_b32_e32 v5, 16, v5
	v_mov_b32_e32 v4, v5
.LBB149_12:
	s_or_b32 exec_lo, exec_lo, s2
	v_cmp_gt_u32_e32 vcc_lo, 28, v2
	v_add_nc_u32_e32 v7, 4, v2
	s_mov_b32 s2, exec_lo
	s_waitcnt lgkmcnt(0)
	v_cndmask_b32_e64 v6, 0, 1, vcc_lo
	s_delay_alu instid0(VALU_DEP_1) | instskip(NEXT) | instid1(VALU_DEP_1)
	v_lshlrev_b32_e32 v6, 2, v6
	v_add_lshl_u32 v6, v6, v2, 2
	ds_bpermute_b32 v6, v6, v5
	;; [unrolled: 43-line block ×3, first 2 shown]
	v_cmpx_le_u32_e64 v7, v3
	s_cbranch_execz .LBB149_24
; %bb.19:
	v_lshlrev_b32_e32 v4, 16, v5
	s_waitcnt lgkmcnt(0)
	v_lshlrev_b32_e32 v5, 16, v6
	s_delay_alu instid0(VALU_DEP_1) | instskip(NEXT) | instid1(VALU_DEP_1)
	v_add_f32_e32 v4, v4, v5
	v_and_b32_e32 v5, 0x7f800000, v4
	s_delay_alu instid0(VALU_DEP_1) | instskip(SKIP_1) | instid1(SALU_CYCLE_1)
	v_cmp_ne_u32_e32 vcc_lo, 0x7f800000, v5
                                        ; implicit-def: $vgpr5
	s_and_saveexec_b32 s3, vcc_lo
	s_xor_b32 s3, exec_lo, s3
; %bb.20:
	v_bfe_u32 v5, v4, 16, 1
	s_delay_alu instid0(VALU_DEP_1)
	v_add3_u32 v5, v4, v5, 0x7fff
                                        ; implicit-def: $vgpr4
; %bb.21:
	s_and_not1_saveexec_b32 s3, s3
; %bb.22:
	v_and_b32_e32 v5, 0xffff, v4
	v_or_b32_e32 v6, 0x10000, v4
	s_delay_alu instid0(VALU_DEP_2) | instskip(NEXT) | instid1(VALU_DEP_2)
	v_cmp_eq_u32_e32 vcc_lo, 0, v5
	v_cndmask_b32_e32 v5, v6, v4, vcc_lo
; %bb.23:
	s_or_b32 exec_lo, exec_lo, s3
	s_delay_alu instid0(VALU_DEP_1) | instskip(NEXT) | instid1(VALU_DEP_1)
	v_lshrrev_b32_e32 v5, 16, v5
	v_mov_b32_e32 v4, v5
.LBB149_24:
	s_or_b32 exec_lo, exec_lo, s2
	v_cmp_gt_u32_e32 vcc_lo, 16, v2
	s_mov_b32 s2, exec_lo
	s_waitcnt lgkmcnt(0)
	v_cndmask_b32_e64 v6, 0, 1, vcc_lo
	s_delay_alu instid0(VALU_DEP_1) | instskip(NEXT) | instid1(VALU_DEP_1)
	v_lshlrev_b32_e32 v6, 4, v6
	v_add_lshl_u32 v6, v6, v2, 2
	v_add_nc_u32_e32 v2, 16, v2
	ds_bpermute_b32 v6, v6, v5
	v_cmpx_le_u32_e64 v2, v3
	s_cbranch_execz .LBB149_30
; %bb.25:
	v_lshlrev_b32_e32 v2, 16, v5
	s_waitcnt lgkmcnt(0)
	v_lshlrev_b32_e32 v3, 16, v6
	s_delay_alu instid0(VALU_DEP_1) | instskip(NEXT) | instid1(VALU_DEP_1)
	v_add_f32_e32 v2, v2, v3
	v_and_b32_e32 v3, 0x7f800000, v2
	s_delay_alu instid0(VALU_DEP_1) | instskip(SKIP_1) | instid1(SALU_CYCLE_1)
	v_cmp_ne_u32_e32 vcc_lo, 0x7f800000, v3
                                        ; implicit-def: $vgpr3
	s_and_saveexec_b32 s3, vcc_lo
	s_xor_b32 s3, exec_lo, s3
; %bb.26:
	v_bfe_u32 v3, v2, 16, 1
	s_delay_alu instid0(VALU_DEP_1)
	v_add3_u32 v3, v2, v3, 0x7fff
                                        ; implicit-def: $vgpr2
; %bb.27:
	s_and_not1_saveexec_b32 s3, s3
; %bb.28:
	v_and_b32_e32 v3, 0xffff, v2
	v_or_b32_e32 v4, 0x10000, v2
	s_delay_alu instid0(VALU_DEP_2) | instskip(NEXT) | instid1(VALU_DEP_2)
	v_cmp_eq_u32_e32 vcc_lo, 0, v3
	v_cndmask_b32_e32 v3, v4, v2, vcc_lo
; %bb.29:
	s_or_b32 exec_lo, exec_lo, s3
	s_delay_alu instid0(VALU_DEP_1)
	v_lshrrev_b32_e32 v4, 16, v3
.LBB149_30:
	s_or_b32 exec_lo, exec_lo, s2
	v_add_co_u32 v0, vcc_lo, s0, v0
	v_add_co_ci_u32_e32 v1, vcc_lo, s1, v1, vcc_lo
	global_store_b16 v[0:1], v4, off
	s_nop 0
	s_sendmsg sendmsg(MSG_DEALLOC_VGPRS)
	s_endpgm
	.section	.rodata,"a",@progbits
	.p2align	6, 0x0
	.amdhsa_kernel _Z33head_segmented_warp_reduce_kernelI12hip_bfloat16hLj128ELj32EENSt9enable_ifIXsr10test_utilsE35device_test_enabled_for_warp_size_vIXT2_EEEvE4typeEPT_PT0_S5_
		.amdhsa_group_segment_fixed_size 0
		.amdhsa_private_segment_fixed_size 0
		.amdhsa_kernarg_size 280
		.amdhsa_user_sgpr_count 15
		.amdhsa_user_sgpr_dispatch_ptr 0
		.amdhsa_user_sgpr_queue_ptr 0
		.amdhsa_user_sgpr_kernarg_segment_ptr 1
		.amdhsa_user_sgpr_dispatch_id 0
		.amdhsa_user_sgpr_private_segment_size 0
		.amdhsa_wavefront_size32 1
		.amdhsa_uses_dynamic_stack 0
		.amdhsa_enable_private_segment 0
		.amdhsa_system_sgpr_workgroup_id_x 1
		.amdhsa_system_sgpr_workgroup_id_y 0
		.amdhsa_system_sgpr_workgroup_id_z 0
		.amdhsa_system_sgpr_workgroup_info 0
		.amdhsa_system_vgpr_workitem_id 0
		.amdhsa_next_free_vgpr 8
		.amdhsa_next_free_sgpr 16
		.amdhsa_reserve_vcc 1
		.amdhsa_float_round_mode_32 0
		.amdhsa_float_round_mode_16_64 0
		.amdhsa_float_denorm_mode_32 3
		.amdhsa_float_denorm_mode_16_64 3
		.amdhsa_dx10_clamp 1
		.amdhsa_ieee_mode 1
		.amdhsa_fp16_overflow 0
		.amdhsa_workgroup_processor_mode 1
		.amdhsa_memory_ordered 1
		.amdhsa_forward_progress 0
		.amdhsa_shared_vgpr_count 0
		.amdhsa_exception_fp_ieee_invalid_op 0
		.amdhsa_exception_fp_denorm_src 0
		.amdhsa_exception_fp_ieee_div_zero 0
		.amdhsa_exception_fp_ieee_overflow 0
		.amdhsa_exception_fp_ieee_underflow 0
		.amdhsa_exception_fp_ieee_inexact 0
		.amdhsa_exception_int_div_zero 0
	.end_amdhsa_kernel
	.section	.text._Z33head_segmented_warp_reduce_kernelI12hip_bfloat16hLj128ELj32EENSt9enable_ifIXsr10test_utilsE35device_test_enabled_for_warp_size_vIXT2_EEEvE4typeEPT_PT0_S5_,"axG",@progbits,_Z33head_segmented_warp_reduce_kernelI12hip_bfloat16hLj128ELj32EENSt9enable_ifIXsr10test_utilsE35device_test_enabled_for_warp_size_vIXT2_EEEvE4typeEPT_PT0_S5_,comdat
.Lfunc_end149:
	.size	_Z33head_segmented_warp_reduce_kernelI12hip_bfloat16hLj128ELj32EENSt9enable_ifIXsr10test_utilsE35device_test_enabled_for_warp_size_vIXT2_EEEvE4typeEPT_PT0_S5_, .Lfunc_end149-_Z33head_segmented_warp_reduce_kernelI12hip_bfloat16hLj128ELj32EENSt9enable_ifIXsr10test_utilsE35device_test_enabled_for_warp_size_vIXT2_EEEvE4typeEPT_PT0_S5_
                                        ; -- End function
	.section	.AMDGPU.csdata,"",@progbits
; Kernel info:
; codeLenInByte = 1092
; NumSgprs: 18
; NumVgprs: 8
; ScratchSize: 0
; MemoryBound: 0
; FloatMode: 240
; IeeeMode: 1
; LDSByteSize: 0 bytes/workgroup (compile time only)
; SGPRBlocks: 2
; VGPRBlocks: 0
; NumSGPRsForWavesPerEU: 18
; NumVGPRsForWavesPerEU: 8
; Occupancy: 16
; WaveLimiterHint : 0
; COMPUTE_PGM_RSRC2:SCRATCH_EN: 0
; COMPUTE_PGM_RSRC2:USER_SGPR: 15
; COMPUTE_PGM_RSRC2:TRAP_HANDLER: 0
; COMPUTE_PGM_RSRC2:TGID_X_EN: 1
; COMPUTE_PGM_RSRC2:TGID_Y_EN: 0
; COMPUTE_PGM_RSRC2:TGID_Z_EN: 0
; COMPUTE_PGM_RSRC2:TIDIG_COMP_CNT: 0
	.section	.text._Z33head_segmented_warp_reduce_kernelI12hip_bfloat16hLj64ELj16EENSt9enable_ifIXsr10test_utilsE35device_test_enabled_for_warp_size_vIXT2_EEEvE4typeEPT_PT0_S5_,"axG",@progbits,_Z33head_segmented_warp_reduce_kernelI12hip_bfloat16hLj64ELj16EENSt9enable_ifIXsr10test_utilsE35device_test_enabled_for_warp_size_vIXT2_EEEvE4typeEPT_PT0_S5_,comdat
	.protected	_Z33head_segmented_warp_reduce_kernelI12hip_bfloat16hLj64ELj16EENSt9enable_ifIXsr10test_utilsE35device_test_enabled_for_warp_size_vIXT2_EEEvE4typeEPT_PT0_S5_ ; -- Begin function _Z33head_segmented_warp_reduce_kernelI12hip_bfloat16hLj64ELj16EENSt9enable_ifIXsr10test_utilsE35device_test_enabled_for_warp_size_vIXT2_EEEvE4typeEPT_PT0_S5_
	.globl	_Z33head_segmented_warp_reduce_kernelI12hip_bfloat16hLj64ELj16EENSt9enable_ifIXsr10test_utilsE35device_test_enabled_for_warp_size_vIXT2_EEEvE4typeEPT_PT0_S5_
	.p2align	8
	.type	_Z33head_segmented_warp_reduce_kernelI12hip_bfloat16hLj64ELj16EENSt9enable_ifIXsr10test_utilsE35device_test_enabled_for_warp_size_vIXT2_EEEvE4typeEPT_PT0_S5_,@function
_Z33head_segmented_warp_reduce_kernelI12hip_bfloat16hLj64ELj16EENSt9enable_ifIXsr10test_utilsE35device_test_enabled_for_warp_size_vIXT2_EEEvE4typeEPT_PT0_S5_: ; @_Z33head_segmented_warp_reduce_kernelI12hip_bfloat16hLj64ELj16EENSt9enable_ifIXsr10test_utilsE35device_test_enabled_for_warp_size_vIXT2_EEEvE4typeEPT_PT0_S5_
; %bb.0:
	s_clause 0x1
	s_load_b32 s2, s[0:1], 0x24
	s_load_b128 s[4:7], s[0:1], 0x0
	s_waitcnt lgkmcnt(0)
	s_and_b32 s2, s2, 0xffff
	s_delay_alu instid0(SALU_CYCLE_1) | instskip(SKIP_2) | instid1(VALU_DEP_1)
	v_mad_u64_u32 v[2:3], null, s15, s2, v[0:1]
	v_mov_b32_e32 v3, 0
	s_load_b64 s[2:3], s[0:1], 0x10
	v_lshlrev_b64 v[0:1], 1, v[2:3]
	global_load_u8 v4, v2, s[6:7]
	v_add_co_u32 v2, vcc_lo, s4, v0
	v_add_co_ci_u32_e32 v3, vcc_lo, s5, v1, vcc_lo
	global_load_u16 v5, v[2:3], off
	v_mbcnt_lo_u32_b32 v2, -1, 0
	s_delay_alu instid0(VALU_DEP_1) | instskip(SKIP_1) | instid1(VALU_DEP_1)
	v_and_b32_e32 v8, 16, v2
	v_and_b32_e32 v3, 15, v2
	v_cmp_ne_u32_e64 s0, 15, v3
	s_delay_alu instid0(VALU_DEP_1) | instskip(NEXT) | instid1(VALU_DEP_1)
	v_add_co_ci_u32_e64 v7, s0, 0, v2, s0
	v_lshlrev_b32_e32 v7, 2, v7
	s_waitcnt vmcnt(1)
	v_cmp_ne_u16_e32 vcc_lo, 0, v4
	v_lshlrev_b32_e64 v4, v2, -1
	s_lshr_b32 s0, vcc_lo, 1
	s_delay_alu instid0(VALU_DEP_1) | instid1(SALU_CYCLE_1)
	v_and_b32_e32 v4, s0, v4
	s_mov_b32 s0, exec_lo
	s_delay_alu instid0(VALU_DEP_1) | instskip(SKIP_2) | instid1(VALU_DEP_2)
	v_lshrrev_b32_e32 v4, v8, v4
	s_waitcnt vmcnt(0)
	v_and_b32_e32 v6, 0xffff, v5
	v_or_b32_e32 v4, 0x8000, v4
	ds_bpermute_b32 v7, v7, v6
	v_ctz_i32_b32_e32 v4, v4
	s_delay_alu instid0(VALU_DEP_1)
	v_cmpx_lt_u32_e64 v3, v4
	s_cbranch_execz .LBB150_6
; %bb.1:
	v_lshlrev_b32_e32 v5, 16, v6
	s_waitcnt lgkmcnt(0)
	v_lshlrev_b32_e32 v6, 16, v7
	s_delay_alu instid0(VALU_DEP_1) | instskip(NEXT) | instid1(VALU_DEP_1)
	v_add_f32_e32 v5, v5, v6
	v_and_b32_e32 v6, 0x7f800000, v5
	s_delay_alu instid0(VALU_DEP_1) | instskip(SKIP_1) | instid1(SALU_CYCLE_1)
	v_cmp_ne_u32_e32 vcc_lo, 0x7f800000, v6
                                        ; implicit-def: $vgpr6
	s_and_saveexec_b32 s1, vcc_lo
	s_xor_b32 s1, exec_lo, s1
; %bb.2:
	v_bfe_u32 v6, v5, 16, 1
	s_delay_alu instid0(VALU_DEP_1)
	v_add3_u32 v6, v5, v6, 0x7fff
                                        ; implicit-def: $vgpr5
; %bb.3:
	s_and_not1_saveexec_b32 s1, s1
; %bb.4:
	v_and_b32_e32 v6, 0xffff, v5
	v_or_b32_e32 v7, 0x10000, v5
	s_delay_alu instid0(VALU_DEP_2) | instskip(NEXT) | instid1(VALU_DEP_2)
	v_cmp_eq_u32_e32 vcc_lo, 0, v6
	v_cndmask_b32_e32 v6, v7, v5, vcc_lo
; %bb.5:
	s_or_b32 exec_lo, exec_lo, s1
	s_delay_alu instid0(VALU_DEP_1) | instskip(NEXT) | instid1(VALU_DEP_1)
	v_lshrrev_b32_e32 v6, 16, v6
	v_mov_b32_e32 v5, v6
.LBB150_6:
	s_or_b32 exec_lo, exec_lo, s0
	v_cmp_gt_u32_e32 vcc_lo, 14, v3
	v_add_nc_u32_e32 v8, 2, v3
	s_mov_b32 s0, exec_lo
	s_waitcnt lgkmcnt(0)
	v_cndmask_b32_e64 v7, 0, 1, vcc_lo
	s_delay_alu instid0(VALU_DEP_1) | instskip(NEXT) | instid1(VALU_DEP_1)
	v_lshlrev_b32_e32 v7, 1, v7
	v_add_lshl_u32 v7, v7, v2, 2
	ds_bpermute_b32 v7, v7, v6
	v_cmpx_le_u32_e64 v8, v4
	s_cbranch_execz .LBB150_12
; %bb.7:
	v_lshlrev_b32_e32 v5, 16, v6
	s_waitcnt lgkmcnt(0)
	v_lshlrev_b32_e32 v6, 16, v7
	s_delay_alu instid0(VALU_DEP_1) | instskip(NEXT) | instid1(VALU_DEP_1)
	v_add_f32_e32 v5, v5, v6
	v_and_b32_e32 v6, 0x7f800000, v5
	s_delay_alu instid0(VALU_DEP_1) | instskip(SKIP_1) | instid1(SALU_CYCLE_1)
	v_cmp_ne_u32_e32 vcc_lo, 0x7f800000, v6
                                        ; implicit-def: $vgpr6
	s_and_saveexec_b32 s1, vcc_lo
	s_xor_b32 s1, exec_lo, s1
; %bb.8:
	v_bfe_u32 v6, v5, 16, 1
	s_delay_alu instid0(VALU_DEP_1)
	v_add3_u32 v6, v5, v6, 0x7fff
                                        ; implicit-def: $vgpr5
; %bb.9:
	s_and_not1_saveexec_b32 s1, s1
; %bb.10:
	v_and_b32_e32 v6, 0xffff, v5
	v_or_b32_e32 v7, 0x10000, v5
	s_delay_alu instid0(VALU_DEP_2) | instskip(NEXT) | instid1(VALU_DEP_2)
	v_cmp_eq_u32_e32 vcc_lo, 0, v6
	v_cndmask_b32_e32 v6, v7, v5, vcc_lo
; %bb.11:
	s_or_b32 exec_lo, exec_lo, s1
	s_delay_alu instid0(VALU_DEP_1) | instskip(NEXT) | instid1(VALU_DEP_1)
	v_lshrrev_b32_e32 v6, 16, v6
	v_mov_b32_e32 v5, v6
.LBB150_12:
	s_or_b32 exec_lo, exec_lo, s0
	v_cmp_gt_u32_e32 vcc_lo, 12, v3
	v_add_nc_u32_e32 v8, 4, v3
	s_mov_b32 s0, exec_lo
	s_waitcnt lgkmcnt(0)
	v_cndmask_b32_e64 v7, 0, 1, vcc_lo
	s_delay_alu instid0(VALU_DEP_1) | instskip(NEXT) | instid1(VALU_DEP_1)
	v_lshlrev_b32_e32 v7, 2, v7
	v_add_lshl_u32 v7, v7, v2, 2
	ds_bpermute_b32 v7, v7, v6
	v_cmpx_le_u32_e64 v8, v4
	;; [unrolled: 43-line block ×3, first 2 shown]
	s_cbranch_execz .LBB150_24
; %bb.19:
	v_lshlrev_b32_e32 v3, 16, v6
	s_waitcnt lgkmcnt(0)
	v_lshlrev_b32_e32 v2, 16, v2
	s_delay_alu instid0(VALU_DEP_1) | instskip(NEXT) | instid1(VALU_DEP_1)
	v_add_f32_e32 v2, v3, v2
	v_and_b32_e32 v3, 0x7f800000, v2
	s_delay_alu instid0(VALU_DEP_1) | instskip(SKIP_1) | instid1(SALU_CYCLE_1)
	v_cmp_ne_u32_e32 vcc_lo, 0x7f800000, v3
                                        ; implicit-def: $vgpr3
	s_and_saveexec_b32 s1, vcc_lo
	s_xor_b32 s1, exec_lo, s1
; %bb.20:
	v_bfe_u32 v3, v2, 16, 1
	s_delay_alu instid0(VALU_DEP_1)
	v_add3_u32 v3, v2, v3, 0x7fff
                                        ; implicit-def: $vgpr2
; %bb.21:
	s_and_not1_saveexec_b32 s1, s1
; %bb.22:
	v_and_b32_e32 v3, 0xffff, v2
	v_or_b32_e32 v4, 0x10000, v2
	s_delay_alu instid0(VALU_DEP_2) | instskip(NEXT) | instid1(VALU_DEP_2)
	v_cmp_eq_u32_e32 vcc_lo, 0, v3
	v_cndmask_b32_e32 v3, v4, v2, vcc_lo
; %bb.23:
	s_or_b32 exec_lo, exec_lo, s1
	s_delay_alu instid0(VALU_DEP_1)
	v_lshrrev_b32_e32 v5, 16, v3
.LBB150_24:
	s_or_b32 exec_lo, exec_lo, s0
	v_add_co_u32 v0, vcc_lo, s2, v0
	v_add_co_ci_u32_e32 v1, vcc_lo, s3, v1, vcc_lo
	global_store_b16 v[0:1], v5, off
	s_nop 0
	s_sendmsg sendmsg(MSG_DEALLOC_VGPRS)
	s_endpgm
	.section	.rodata,"a",@progbits
	.p2align	6, 0x0
	.amdhsa_kernel _Z33head_segmented_warp_reduce_kernelI12hip_bfloat16hLj64ELj16EENSt9enable_ifIXsr10test_utilsE35device_test_enabled_for_warp_size_vIXT2_EEEvE4typeEPT_PT0_S5_
		.amdhsa_group_segment_fixed_size 0
		.amdhsa_private_segment_fixed_size 0
		.amdhsa_kernarg_size 280
		.amdhsa_user_sgpr_count 15
		.amdhsa_user_sgpr_dispatch_ptr 0
		.amdhsa_user_sgpr_queue_ptr 0
		.amdhsa_user_sgpr_kernarg_segment_ptr 1
		.amdhsa_user_sgpr_dispatch_id 0
		.amdhsa_user_sgpr_private_segment_size 0
		.amdhsa_wavefront_size32 1
		.amdhsa_uses_dynamic_stack 0
		.amdhsa_enable_private_segment 0
		.amdhsa_system_sgpr_workgroup_id_x 1
		.amdhsa_system_sgpr_workgroup_id_y 0
		.amdhsa_system_sgpr_workgroup_id_z 0
		.amdhsa_system_sgpr_workgroup_info 0
		.amdhsa_system_vgpr_workitem_id 0
		.amdhsa_next_free_vgpr 9
		.amdhsa_next_free_sgpr 16
		.amdhsa_reserve_vcc 1
		.amdhsa_float_round_mode_32 0
		.amdhsa_float_round_mode_16_64 0
		.amdhsa_float_denorm_mode_32 3
		.amdhsa_float_denorm_mode_16_64 3
		.amdhsa_dx10_clamp 1
		.amdhsa_ieee_mode 1
		.amdhsa_fp16_overflow 0
		.amdhsa_workgroup_processor_mode 1
		.amdhsa_memory_ordered 1
		.amdhsa_forward_progress 0
		.amdhsa_shared_vgpr_count 0
		.amdhsa_exception_fp_ieee_invalid_op 0
		.amdhsa_exception_fp_denorm_src 0
		.amdhsa_exception_fp_ieee_div_zero 0
		.amdhsa_exception_fp_ieee_overflow 0
		.amdhsa_exception_fp_ieee_underflow 0
		.amdhsa_exception_fp_ieee_inexact 0
		.amdhsa_exception_int_div_zero 0
	.end_amdhsa_kernel
	.section	.text._Z33head_segmented_warp_reduce_kernelI12hip_bfloat16hLj64ELj16EENSt9enable_ifIXsr10test_utilsE35device_test_enabled_for_warp_size_vIXT2_EEEvE4typeEPT_PT0_S5_,"axG",@progbits,_Z33head_segmented_warp_reduce_kernelI12hip_bfloat16hLj64ELj16EENSt9enable_ifIXsr10test_utilsE35device_test_enabled_for_warp_size_vIXT2_EEEvE4typeEPT_PT0_S5_,comdat
.Lfunc_end150:
	.size	_Z33head_segmented_warp_reduce_kernelI12hip_bfloat16hLj64ELj16EENSt9enable_ifIXsr10test_utilsE35device_test_enabled_for_warp_size_vIXT2_EEEvE4typeEPT_PT0_S5_, .Lfunc_end150-_Z33head_segmented_warp_reduce_kernelI12hip_bfloat16hLj64ELj16EENSt9enable_ifIXsr10test_utilsE35device_test_enabled_for_warp_size_vIXT2_EEEvE4typeEPT_PT0_S5_
                                        ; -- End function
	.section	.AMDGPU.csdata,"",@progbits
; Kernel info:
; codeLenInByte = 928
; NumSgprs: 18
; NumVgprs: 9
; ScratchSize: 0
; MemoryBound: 0
; FloatMode: 240
; IeeeMode: 1
; LDSByteSize: 0 bytes/workgroup (compile time only)
; SGPRBlocks: 2
; VGPRBlocks: 1
; NumSGPRsForWavesPerEU: 18
; NumVGPRsForWavesPerEU: 9
; Occupancy: 16
; WaveLimiterHint : 0
; COMPUTE_PGM_RSRC2:SCRATCH_EN: 0
; COMPUTE_PGM_RSRC2:USER_SGPR: 15
; COMPUTE_PGM_RSRC2:TRAP_HANDLER: 0
; COMPUTE_PGM_RSRC2:TGID_X_EN: 1
; COMPUTE_PGM_RSRC2:TGID_Y_EN: 0
; COMPUTE_PGM_RSRC2:TGID_Z_EN: 0
; COMPUTE_PGM_RSRC2:TIDIG_COMP_CNT: 0
	.section	.text._Z33head_segmented_warp_reduce_kernelI12hip_bfloat16hLj32ELj8EENSt9enable_ifIXsr10test_utilsE35device_test_enabled_for_warp_size_vIXT2_EEEvE4typeEPT_PT0_S5_,"axG",@progbits,_Z33head_segmented_warp_reduce_kernelI12hip_bfloat16hLj32ELj8EENSt9enable_ifIXsr10test_utilsE35device_test_enabled_for_warp_size_vIXT2_EEEvE4typeEPT_PT0_S5_,comdat
	.protected	_Z33head_segmented_warp_reduce_kernelI12hip_bfloat16hLj32ELj8EENSt9enable_ifIXsr10test_utilsE35device_test_enabled_for_warp_size_vIXT2_EEEvE4typeEPT_PT0_S5_ ; -- Begin function _Z33head_segmented_warp_reduce_kernelI12hip_bfloat16hLj32ELj8EENSt9enable_ifIXsr10test_utilsE35device_test_enabled_for_warp_size_vIXT2_EEEvE4typeEPT_PT0_S5_
	.globl	_Z33head_segmented_warp_reduce_kernelI12hip_bfloat16hLj32ELj8EENSt9enable_ifIXsr10test_utilsE35device_test_enabled_for_warp_size_vIXT2_EEEvE4typeEPT_PT0_S5_
	.p2align	8
	.type	_Z33head_segmented_warp_reduce_kernelI12hip_bfloat16hLj32ELj8EENSt9enable_ifIXsr10test_utilsE35device_test_enabled_for_warp_size_vIXT2_EEEvE4typeEPT_PT0_S5_,@function
_Z33head_segmented_warp_reduce_kernelI12hip_bfloat16hLj32ELj8EENSt9enable_ifIXsr10test_utilsE35device_test_enabled_for_warp_size_vIXT2_EEEvE4typeEPT_PT0_S5_: ; @_Z33head_segmented_warp_reduce_kernelI12hip_bfloat16hLj32ELj8EENSt9enable_ifIXsr10test_utilsE35device_test_enabled_for_warp_size_vIXT2_EEEvE4typeEPT_PT0_S5_
; %bb.0:
	s_clause 0x1
	s_load_b32 s2, s[0:1], 0x24
	s_load_b128 s[4:7], s[0:1], 0x0
	s_waitcnt lgkmcnt(0)
	s_and_b32 s2, s2, 0xffff
	s_delay_alu instid0(SALU_CYCLE_1) | instskip(SKIP_2) | instid1(VALU_DEP_1)
	v_mad_u64_u32 v[2:3], null, s15, s2, v[0:1]
	v_mov_b32_e32 v3, 0
	s_load_b64 s[2:3], s[0:1], 0x10
	v_lshlrev_b64 v[0:1], 1, v[2:3]
	global_load_u8 v4, v2, s[6:7]
	v_add_co_u32 v2, vcc_lo, s4, v0
	v_add_co_ci_u32_e32 v3, vcc_lo, s5, v1, vcc_lo
	global_load_u16 v5, v[2:3], off
	v_mbcnt_lo_u32_b32 v2, -1, 0
	s_delay_alu instid0(VALU_DEP_1) | instskip(SKIP_1) | instid1(VALU_DEP_1)
	v_and_b32_e32 v8, 24, v2
	v_and_b32_e32 v3, 7, v2
	v_cmp_ne_u32_e64 s0, 7, v3
	s_delay_alu instid0(VALU_DEP_1) | instskip(NEXT) | instid1(VALU_DEP_1)
	v_add_co_ci_u32_e64 v7, s0, 0, v2, s0
	v_lshlrev_b32_e32 v7, 2, v7
	s_waitcnt vmcnt(1)
	v_cmp_ne_u16_e32 vcc_lo, 0, v4
	v_lshlrev_b32_e64 v4, v2, -1
	s_lshr_b32 s0, vcc_lo, 1
	s_delay_alu instid0(VALU_DEP_1) | instid1(SALU_CYCLE_1)
	v_and_b32_e32 v4, s0, v4
	s_mov_b32 s0, exec_lo
	s_delay_alu instid0(VALU_DEP_1) | instskip(SKIP_2) | instid1(VALU_DEP_2)
	v_lshrrev_b32_e32 v4, v8, v4
	s_waitcnt vmcnt(0)
	v_and_b32_e32 v6, 0xffff, v5
	v_or_b32_e32 v4, 0x80, v4
	ds_bpermute_b32 v7, v7, v6
	v_ctz_i32_b32_e32 v4, v4
	s_delay_alu instid0(VALU_DEP_1)
	v_cmpx_lt_u32_e64 v3, v4
	s_cbranch_execz .LBB151_6
; %bb.1:
	v_lshlrev_b32_e32 v5, 16, v6
	s_waitcnt lgkmcnt(0)
	v_lshlrev_b32_e32 v6, 16, v7
	s_delay_alu instid0(VALU_DEP_1) | instskip(NEXT) | instid1(VALU_DEP_1)
	v_add_f32_e32 v5, v5, v6
	v_and_b32_e32 v6, 0x7f800000, v5
	s_delay_alu instid0(VALU_DEP_1) | instskip(SKIP_1) | instid1(SALU_CYCLE_1)
	v_cmp_ne_u32_e32 vcc_lo, 0x7f800000, v6
                                        ; implicit-def: $vgpr6
	s_and_saveexec_b32 s1, vcc_lo
	s_xor_b32 s1, exec_lo, s1
; %bb.2:
	v_bfe_u32 v6, v5, 16, 1
	s_delay_alu instid0(VALU_DEP_1)
	v_add3_u32 v6, v5, v6, 0x7fff
                                        ; implicit-def: $vgpr5
; %bb.3:
	s_and_not1_saveexec_b32 s1, s1
; %bb.4:
	v_and_b32_e32 v6, 0xffff, v5
	v_or_b32_e32 v7, 0x10000, v5
	s_delay_alu instid0(VALU_DEP_2) | instskip(NEXT) | instid1(VALU_DEP_2)
	v_cmp_eq_u32_e32 vcc_lo, 0, v6
	v_cndmask_b32_e32 v6, v7, v5, vcc_lo
; %bb.5:
	s_or_b32 exec_lo, exec_lo, s1
	s_delay_alu instid0(VALU_DEP_1) | instskip(NEXT) | instid1(VALU_DEP_1)
	v_lshrrev_b32_e32 v6, 16, v6
	v_mov_b32_e32 v5, v6
.LBB151_6:
	s_or_b32 exec_lo, exec_lo, s0
	v_cmp_gt_u32_e32 vcc_lo, 6, v3
	v_add_nc_u32_e32 v8, 2, v3
	s_mov_b32 s0, exec_lo
	s_waitcnt lgkmcnt(0)
	v_cndmask_b32_e64 v7, 0, 1, vcc_lo
	s_delay_alu instid0(VALU_DEP_1) | instskip(NEXT) | instid1(VALU_DEP_1)
	v_lshlrev_b32_e32 v7, 1, v7
	v_add_lshl_u32 v7, v7, v2, 2
	ds_bpermute_b32 v7, v7, v6
	v_cmpx_le_u32_e64 v8, v4
	s_cbranch_execz .LBB151_12
; %bb.7:
	v_lshlrev_b32_e32 v5, 16, v6
	s_waitcnt lgkmcnt(0)
	v_lshlrev_b32_e32 v6, 16, v7
	s_delay_alu instid0(VALU_DEP_1) | instskip(NEXT) | instid1(VALU_DEP_1)
	v_add_f32_e32 v5, v5, v6
	v_and_b32_e32 v6, 0x7f800000, v5
	s_delay_alu instid0(VALU_DEP_1) | instskip(SKIP_1) | instid1(SALU_CYCLE_1)
	v_cmp_ne_u32_e32 vcc_lo, 0x7f800000, v6
                                        ; implicit-def: $vgpr6
	s_and_saveexec_b32 s1, vcc_lo
	s_xor_b32 s1, exec_lo, s1
; %bb.8:
	v_bfe_u32 v6, v5, 16, 1
	s_delay_alu instid0(VALU_DEP_1)
	v_add3_u32 v6, v5, v6, 0x7fff
                                        ; implicit-def: $vgpr5
; %bb.9:
	s_and_not1_saveexec_b32 s1, s1
; %bb.10:
	v_and_b32_e32 v6, 0xffff, v5
	v_or_b32_e32 v7, 0x10000, v5
	s_delay_alu instid0(VALU_DEP_2) | instskip(NEXT) | instid1(VALU_DEP_2)
	v_cmp_eq_u32_e32 vcc_lo, 0, v6
	v_cndmask_b32_e32 v6, v7, v5, vcc_lo
; %bb.11:
	s_or_b32 exec_lo, exec_lo, s1
	s_delay_alu instid0(VALU_DEP_1) | instskip(NEXT) | instid1(VALU_DEP_1)
	v_lshrrev_b32_e32 v6, 16, v6
	v_mov_b32_e32 v5, v6
.LBB151_12:
	s_or_b32 exec_lo, exec_lo, s0
	v_cmp_gt_u32_e32 vcc_lo, 4, v3
	v_add_nc_u32_e32 v3, 4, v3
	s_mov_b32 s0, exec_lo
	s_waitcnt lgkmcnt(0)
	v_cndmask_b32_e64 v7, 0, 1, vcc_lo
	s_delay_alu instid0(VALU_DEP_1) | instskip(NEXT) | instid1(VALU_DEP_1)
	v_lshlrev_b32_e32 v7, 2, v7
	v_add_lshl_u32 v2, v7, v2, 2
	ds_bpermute_b32 v2, v2, v6
	v_cmpx_le_u32_e64 v3, v4
	s_cbranch_execz .LBB151_18
; %bb.13:
	v_lshlrev_b32_e32 v3, 16, v6
	s_waitcnt lgkmcnt(0)
	v_lshlrev_b32_e32 v2, 16, v2
	s_delay_alu instid0(VALU_DEP_1) | instskip(NEXT) | instid1(VALU_DEP_1)
	v_add_f32_e32 v2, v3, v2
	v_and_b32_e32 v3, 0x7f800000, v2
	s_delay_alu instid0(VALU_DEP_1) | instskip(SKIP_1) | instid1(SALU_CYCLE_1)
	v_cmp_ne_u32_e32 vcc_lo, 0x7f800000, v3
                                        ; implicit-def: $vgpr3
	s_and_saveexec_b32 s1, vcc_lo
	s_xor_b32 s1, exec_lo, s1
; %bb.14:
	v_bfe_u32 v3, v2, 16, 1
	s_delay_alu instid0(VALU_DEP_1)
	v_add3_u32 v3, v2, v3, 0x7fff
                                        ; implicit-def: $vgpr2
; %bb.15:
	s_and_not1_saveexec_b32 s1, s1
; %bb.16:
	v_and_b32_e32 v3, 0xffff, v2
	v_or_b32_e32 v4, 0x10000, v2
	s_delay_alu instid0(VALU_DEP_2) | instskip(NEXT) | instid1(VALU_DEP_2)
	v_cmp_eq_u32_e32 vcc_lo, 0, v3
	v_cndmask_b32_e32 v3, v4, v2, vcc_lo
; %bb.17:
	s_or_b32 exec_lo, exec_lo, s1
	s_delay_alu instid0(VALU_DEP_1)
	v_lshrrev_b32_e32 v5, 16, v3
.LBB151_18:
	s_or_b32 exec_lo, exec_lo, s0
	v_add_co_u32 v0, vcc_lo, s2, v0
	v_add_co_ci_u32_e32 v1, vcc_lo, s3, v1, vcc_lo
	global_store_b16 v[0:1], v5, off
	s_nop 0
	s_sendmsg sendmsg(MSG_DEALLOC_VGPRS)
	s_endpgm
	.section	.rodata,"a",@progbits
	.p2align	6, 0x0
	.amdhsa_kernel _Z33head_segmented_warp_reduce_kernelI12hip_bfloat16hLj32ELj8EENSt9enable_ifIXsr10test_utilsE35device_test_enabled_for_warp_size_vIXT2_EEEvE4typeEPT_PT0_S5_
		.amdhsa_group_segment_fixed_size 0
		.amdhsa_private_segment_fixed_size 0
		.amdhsa_kernarg_size 280
		.amdhsa_user_sgpr_count 15
		.amdhsa_user_sgpr_dispatch_ptr 0
		.amdhsa_user_sgpr_queue_ptr 0
		.amdhsa_user_sgpr_kernarg_segment_ptr 1
		.amdhsa_user_sgpr_dispatch_id 0
		.amdhsa_user_sgpr_private_segment_size 0
		.amdhsa_wavefront_size32 1
		.amdhsa_uses_dynamic_stack 0
		.amdhsa_enable_private_segment 0
		.amdhsa_system_sgpr_workgroup_id_x 1
		.amdhsa_system_sgpr_workgroup_id_y 0
		.amdhsa_system_sgpr_workgroup_id_z 0
		.amdhsa_system_sgpr_workgroup_info 0
		.amdhsa_system_vgpr_workitem_id 0
		.amdhsa_next_free_vgpr 9
		.amdhsa_next_free_sgpr 16
		.amdhsa_reserve_vcc 1
		.amdhsa_float_round_mode_32 0
		.amdhsa_float_round_mode_16_64 0
		.amdhsa_float_denorm_mode_32 3
		.amdhsa_float_denorm_mode_16_64 3
		.amdhsa_dx10_clamp 1
		.amdhsa_ieee_mode 1
		.amdhsa_fp16_overflow 0
		.amdhsa_workgroup_processor_mode 1
		.amdhsa_memory_ordered 1
		.amdhsa_forward_progress 0
		.amdhsa_shared_vgpr_count 0
		.amdhsa_exception_fp_ieee_invalid_op 0
		.amdhsa_exception_fp_denorm_src 0
		.amdhsa_exception_fp_ieee_div_zero 0
		.amdhsa_exception_fp_ieee_overflow 0
		.amdhsa_exception_fp_ieee_underflow 0
		.amdhsa_exception_fp_ieee_inexact 0
		.amdhsa_exception_int_div_zero 0
	.end_amdhsa_kernel
	.section	.text._Z33head_segmented_warp_reduce_kernelI12hip_bfloat16hLj32ELj8EENSt9enable_ifIXsr10test_utilsE35device_test_enabled_for_warp_size_vIXT2_EEEvE4typeEPT_PT0_S5_,"axG",@progbits,_Z33head_segmented_warp_reduce_kernelI12hip_bfloat16hLj32ELj8EENSt9enable_ifIXsr10test_utilsE35device_test_enabled_for_warp_size_vIXT2_EEEvE4typeEPT_PT0_S5_,comdat
.Lfunc_end151:
	.size	_Z33head_segmented_warp_reduce_kernelI12hip_bfloat16hLj32ELj8EENSt9enable_ifIXsr10test_utilsE35device_test_enabled_for_warp_size_vIXT2_EEEvE4typeEPT_PT0_S5_, .Lfunc_end151-_Z33head_segmented_warp_reduce_kernelI12hip_bfloat16hLj32ELj8EENSt9enable_ifIXsr10test_utilsE35device_test_enabled_for_warp_size_vIXT2_EEEvE4typeEPT_PT0_S5_
                                        ; -- End function
	.section	.AMDGPU.csdata,"",@progbits
; Kernel info:
; codeLenInByte = 744
; NumSgprs: 18
; NumVgprs: 9
; ScratchSize: 0
; MemoryBound: 0
; FloatMode: 240
; IeeeMode: 1
; LDSByteSize: 0 bytes/workgroup (compile time only)
; SGPRBlocks: 2
; VGPRBlocks: 1
; NumSGPRsForWavesPerEU: 18
; NumVGPRsForWavesPerEU: 9
; Occupancy: 16
; WaveLimiterHint : 0
; COMPUTE_PGM_RSRC2:SCRATCH_EN: 0
; COMPUTE_PGM_RSRC2:USER_SGPR: 15
; COMPUTE_PGM_RSRC2:TRAP_HANDLER: 0
; COMPUTE_PGM_RSRC2:TGID_X_EN: 1
; COMPUTE_PGM_RSRC2:TGID_Y_EN: 0
; COMPUTE_PGM_RSRC2:TGID_Z_EN: 0
; COMPUTE_PGM_RSRC2:TIDIG_COMP_CNT: 0
	.section	.text._Z33head_segmented_warp_reduce_kernelI12hip_bfloat16hLj64ELj8EENSt9enable_ifIXsr10test_utilsE35device_test_enabled_for_warp_size_vIXT2_EEEvE4typeEPT_PT0_S5_,"axG",@progbits,_Z33head_segmented_warp_reduce_kernelI12hip_bfloat16hLj64ELj8EENSt9enable_ifIXsr10test_utilsE35device_test_enabled_for_warp_size_vIXT2_EEEvE4typeEPT_PT0_S5_,comdat
	.protected	_Z33head_segmented_warp_reduce_kernelI12hip_bfloat16hLj64ELj8EENSt9enable_ifIXsr10test_utilsE35device_test_enabled_for_warp_size_vIXT2_EEEvE4typeEPT_PT0_S5_ ; -- Begin function _Z33head_segmented_warp_reduce_kernelI12hip_bfloat16hLj64ELj8EENSt9enable_ifIXsr10test_utilsE35device_test_enabled_for_warp_size_vIXT2_EEEvE4typeEPT_PT0_S5_
	.globl	_Z33head_segmented_warp_reduce_kernelI12hip_bfloat16hLj64ELj8EENSt9enable_ifIXsr10test_utilsE35device_test_enabled_for_warp_size_vIXT2_EEEvE4typeEPT_PT0_S5_
	.p2align	8
	.type	_Z33head_segmented_warp_reduce_kernelI12hip_bfloat16hLj64ELj8EENSt9enable_ifIXsr10test_utilsE35device_test_enabled_for_warp_size_vIXT2_EEEvE4typeEPT_PT0_S5_,@function
_Z33head_segmented_warp_reduce_kernelI12hip_bfloat16hLj64ELj8EENSt9enable_ifIXsr10test_utilsE35device_test_enabled_for_warp_size_vIXT2_EEEvE4typeEPT_PT0_S5_: ; @_Z33head_segmented_warp_reduce_kernelI12hip_bfloat16hLj64ELj8EENSt9enable_ifIXsr10test_utilsE35device_test_enabled_for_warp_size_vIXT2_EEEvE4typeEPT_PT0_S5_
; %bb.0:
	s_clause 0x1
	s_load_b32 s2, s[0:1], 0x24
	s_load_b128 s[4:7], s[0:1], 0x0
	s_waitcnt lgkmcnt(0)
	s_and_b32 s2, s2, 0xffff
	s_delay_alu instid0(SALU_CYCLE_1) | instskip(SKIP_2) | instid1(VALU_DEP_1)
	v_mad_u64_u32 v[2:3], null, s15, s2, v[0:1]
	v_mov_b32_e32 v3, 0
	s_load_b64 s[2:3], s[0:1], 0x10
	v_lshlrev_b64 v[0:1], 1, v[2:3]
	global_load_u8 v4, v2, s[6:7]
	v_add_co_u32 v2, vcc_lo, s4, v0
	v_add_co_ci_u32_e32 v3, vcc_lo, s5, v1, vcc_lo
	global_load_u16 v5, v[2:3], off
	v_mbcnt_lo_u32_b32 v2, -1, 0
	s_delay_alu instid0(VALU_DEP_1) | instskip(SKIP_1) | instid1(VALU_DEP_1)
	v_and_b32_e32 v8, 24, v2
	v_and_b32_e32 v3, 7, v2
	v_cmp_ne_u32_e64 s0, 7, v3
	s_delay_alu instid0(VALU_DEP_1) | instskip(NEXT) | instid1(VALU_DEP_1)
	v_add_co_ci_u32_e64 v7, s0, 0, v2, s0
	v_lshlrev_b32_e32 v7, 2, v7
	s_waitcnt vmcnt(1)
	v_cmp_ne_u16_e32 vcc_lo, 0, v4
	v_lshlrev_b32_e64 v4, v2, -1
	s_lshr_b32 s0, vcc_lo, 1
	s_delay_alu instid0(VALU_DEP_1) | instid1(SALU_CYCLE_1)
	v_and_b32_e32 v4, s0, v4
	s_mov_b32 s0, exec_lo
	s_delay_alu instid0(VALU_DEP_1) | instskip(SKIP_2) | instid1(VALU_DEP_2)
	v_lshrrev_b32_e32 v4, v8, v4
	s_waitcnt vmcnt(0)
	v_and_b32_e32 v6, 0xffff, v5
	v_or_b32_e32 v4, 0x80, v4
	ds_bpermute_b32 v7, v7, v6
	v_ctz_i32_b32_e32 v4, v4
	s_delay_alu instid0(VALU_DEP_1)
	v_cmpx_lt_u32_e64 v3, v4
	s_cbranch_execz .LBB152_6
; %bb.1:
	v_lshlrev_b32_e32 v5, 16, v6
	s_waitcnt lgkmcnt(0)
	v_lshlrev_b32_e32 v6, 16, v7
	s_delay_alu instid0(VALU_DEP_1) | instskip(NEXT) | instid1(VALU_DEP_1)
	v_add_f32_e32 v5, v5, v6
	v_and_b32_e32 v6, 0x7f800000, v5
	s_delay_alu instid0(VALU_DEP_1) | instskip(SKIP_1) | instid1(SALU_CYCLE_1)
	v_cmp_ne_u32_e32 vcc_lo, 0x7f800000, v6
                                        ; implicit-def: $vgpr6
	s_and_saveexec_b32 s1, vcc_lo
	s_xor_b32 s1, exec_lo, s1
; %bb.2:
	v_bfe_u32 v6, v5, 16, 1
	s_delay_alu instid0(VALU_DEP_1)
	v_add3_u32 v6, v5, v6, 0x7fff
                                        ; implicit-def: $vgpr5
; %bb.3:
	s_and_not1_saveexec_b32 s1, s1
; %bb.4:
	v_and_b32_e32 v6, 0xffff, v5
	v_or_b32_e32 v7, 0x10000, v5
	s_delay_alu instid0(VALU_DEP_2) | instskip(NEXT) | instid1(VALU_DEP_2)
	v_cmp_eq_u32_e32 vcc_lo, 0, v6
	v_cndmask_b32_e32 v6, v7, v5, vcc_lo
; %bb.5:
	s_or_b32 exec_lo, exec_lo, s1
	s_delay_alu instid0(VALU_DEP_1) | instskip(NEXT) | instid1(VALU_DEP_1)
	v_lshrrev_b32_e32 v6, 16, v6
	v_mov_b32_e32 v5, v6
.LBB152_6:
	s_or_b32 exec_lo, exec_lo, s0
	v_cmp_gt_u32_e32 vcc_lo, 6, v3
	v_add_nc_u32_e32 v8, 2, v3
	s_mov_b32 s0, exec_lo
	s_waitcnt lgkmcnt(0)
	v_cndmask_b32_e64 v7, 0, 1, vcc_lo
	s_delay_alu instid0(VALU_DEP_1) | instskip(NEXT) | instid1(VALU_DEP_1)
	v_lshlrev_b32_e32 v7, 1, v7
	v_add_lshl_u32 v7, v7, v2, 2
	ds_bpermute_b32 v7, v7, v6
	v_cmpx_le_u32_e64 v8, v4
	s_cbranch_execz .LBB152_12
; %bb.7:
	v_lshlrev_b32_e32 v5, 16, v6
	s_waitcnt lgkmcnt(0)
	v_lshlrev_b32_e32 v6, 16, v7
	s_delay_alu instid0(VALU_DEP_1) | instskip(NEXT) | instid1(VALU_DEP_1)
	v_add_f32_e32 v5, v5, v6
	v_and_b32_e32 v6, 0x7f800000, v5
	s_delay_alu instid0(VALU_DEP_1) | instskip(SKIP_1) | instid1(SALU_CYCLE_1)
	v_cmp_ne_u32_e32 vcc_lo, 0x7f800000, v6
                                        ; implicit-def: $vgpr6
	s_and_saveexec_b32 s1, vcc_lo
	s_xor_b32 s1, exec_lo, s1
; %bb.8:
	v_bfe_u32 v6, v5, 16, 1
	s_delay_alu instid0(VALU_DEP_1)
	v_add3_u32 v6, v5, v6, 0x7fff
                                        ; implicit-def: $vgpr5
; %bb.9:
	s_and_not1_saveexec_b32 s1, s1
; %bb.10:
	v_and_b32_e32 v6, 0xffff, v5
	v_or_b32_e32 v7, 0x10000, v5
	s_delay_alu instid0(VALU_DEP_2) | instskip(NEXT) | instid1(VALU_DEP_2)
	v_cmp_eq_u32_e32 vcc_lo, 0, v6
	v_cndmask_b32_e32 v6, v7, v5, vcc_lo
; %bb.11:
	s_or_b32 exec_lo, exec_lo, s1
	s_delay_alu instid0(VALU_DEP_1) | instskip(NEXT) | instid1(VALU_DEP_1)
	v_lshrrev_b32_e32 v6, 16, v6
	v_mov_b32_e32 v5, v6
.LBB152_12:
	s_or_b32 exec_lo, exec_lo, s0
	v_cmp_gt_u32_e32 vcc_lo, 4, v3
	v_add_nc_u32_e32 v3, 4, v3
	s_mov_b32 s0, exec_lo
	s_waitcnt lgkmcnt(0)
	v_cndmask_b32_e64 v7, 0, 1, vcc_lo
	s_delay_alu instid0(VALU_DEP_1) | instskip(NEXT) | instid1(VALU_DEP_1)
	v_lshlrev_b32_e32 v7, 2, v7
	v_add_lshl_u32 v2, v7, v2, 2
	ds_bpermute_b32 v2, v2, v6
	v_cmpx_le_u32_e64 v3, v4
	s_cbranch_execz .LBB152_18
; %bb.13:
	v_lshlrev_b32_e32 v3, 16, v6
	s_waitcnt lgkmcnt(0)
	v_lshlrev_b32_e32 v2, 16, v2
	s_delay_alu instid0(VALU_DEP_1) | instskip(NEXT) | instid1(VALU_DEP_1)
	v_add_f32_e32 v2, v3, v2
	v_and_b32_e32 v3, 0x7f800000, v2
	s_delay_alu instid0(VALU_DEP_1) | instskip(SKIP_1) | instid1(SALU_CYCLE_1)
	v_cmp_ne_u32_e32 vcc_lo, 0x7f800000, v3
                                        ; implicit-def: $vgpr3
	s_and_saveexec_b32 s1, vcc_lo
	s_xor_b32 s1, exec_lo, s1
; %bb.14:
	v_bfe_u32 v3, v2, 16, 1
	s_delay_alu instid0(VALU_DEP_1)
	v_add3_u32 v3, v2, v3, 0x7fff
                                        ; implicit-def: $vgpr2
; %bb.15:
	s_and_not1_saveexec_b32 s1, s1
; %bb.16:
	v_and_b32_e32 v3, 0xffff, v2
	v_or_b32_e32 v4, 0x10000, v2
	s_delay_alu instid0(VALU_DEP_2) | instskip(NEXT) | instid1(VALU_DEP_2)
	v_cmp_eq_u32_e32 vcc_lo, 0, v3
	v_cndmask_b32_e32 v3, v4, v2, vcc_lo
; %bb.17:
	s_or_b32 exec_lo, exec_lo, s1
	s_delay_alu instid0(VALU_DEP_1)
	v_lshrrev_b32_e32 v5, 16, v3
.LBB152_18:
	s_or_b32 exec_lo, exec_lo, s0
	v_add_co_u32 v0, vcc_lo, s2, v0
	v_add_co_ci_u32_e32 v1, vcc_lo, s3, v1, vcc_lo
	global_store_b16 v[0:1], v5, off
	s_nop 0
	s_sendmsg sendmsg(MSG_DEALLOC_VGPRS)
	s_endpgm
	.section	.rodata,"a",@progbits
	.p2align	6, 0x0
	.amdhsa_kernel _Z33head_segmented_warp_reduce_kernelI12hip_bfloat16hLj64ELj8EENSt9enable_ifIXsr10test_utilsE35device_test_enabled_for_warp_size_vIXT2_EEEvE4typeEPT_PT0_S5_
		.amdhsa_group_segment_fixed_size 0
		.amdhsa_private_segment_fixed_size 0
		.amdhsa_kernarg_size 280
		.amdhsa_user_sgpr_count 15
		.amdhsa_user_sgpr_dispatch_ptr 0
		.amdhsa_user_sgpr_queue_ptr 0
		.amdhsa_user_sgpr_kernarg_segment_ptr 1
		.amdhsa_user_sgpr_dispatch_id 0
		.amdhsa_user_sgpr_private_segment_size 0
		.amdhsa_wavefront_size32 1
		.amdhsa_uses_dynamic_stack 0
		.amdhsa_enable_private_segment 0
		.amdhsa_system_sgpr_workgroup_id_x 1
		.amdhsa_system_sgpr_workgroup_id_y 0
		.amdhsa_system_sgpr_workgroup_id_z 0
		.amdhsa_system_sgpr_workgroup_info 0
		.amdhsa_system_vgpr_workitem_id 0
		.amdhsa_next_free_vgpr 9
		.amdhsa_next_free_sgpr 16
		.amdhsa_reserve_vcc 1
		.amdhsa_float_round_mode_32 0
		.amdhsa_float_round_mode_16_64 0
		.amdhsa_float_denorm_mode_32 3
		.amdhsa_float_denorm_mode_16_64 3
		.amdhsa_dx10_clamp 1
		.amdhsa_ieee_mode 1
		.amdhsa_fp16_overflow 0
		.amdhsa_workgroup_processor_mode 1
		.amdhsa_memory_ordered 1
		.amdhsa_forward_progress 0
		.amdhsa_shared_vgpr_count 0
		.amdhsa_exception_fp_ieee_invalid_op 0
		.amdhsa_exception_fp_denorm_src 0
		.amdhsa_exception_fp_ieee_div_zero 0
		.amdhsa_exception_fp_ieee_overflow 0
		.amdhsa_exception_fp_ieee_underflow 0
		.amdhsa_exception_fp_ieee_inexact 0
		.amdhsa_exception_int_div_zero 0
	.end_amdhsa_kernel
	.section	.text._Z33head_segmented_warp_reduce_kernelI12hip_bfloat16hLj64ELj8EENSt9enable_ifIXsr10test_utilsE35device_test_enabled_for_warp_size_vIXT2_EEEvE4typeEPT_PT0_S5_,"axG",@progbits,_Z33head_segmented_warp_reduce_kernelI12hip_bfloat16hLj64ELj8EENSt9enable_ifIXsr10test_utilsE35device_test_enabled_for_warp_size_vIXT2_EEEvE4typeEPT_PT0_S5_,comdat
.Lfunc_end152:
	.size	_Z33head_segmented_warp_reduce_kernelI12hip_bfloat16hLj64ELj8EENSt9enable_ifIXsr10test_utilsE35device_test_enabled_for_warp_size_vIXT2_EEEvE4typeEPT_PT0_S5_, .Lfunc_end152-_Z33head_segmented_warp_reduce_kernelI12hip_bfloat16hLj64ELj8EENSt9enable_ifIXsr10test_utilsE35device_test_enabled_for_warp_size_vIXT2_EEEvE4typeEPT_PT0_S5_
                                        ; -- End function
	.section	.AMDGPU.csdata,"",@progbits
; Kernel info:
; codeLenInByte = 744
; NumSgprs: 18
; NumVgprs: 9
; ScratchSize: 0
; MemoryBound: 0
; FloatMode: 240
; IeeeMode: 1
; LDSByteSize: 0 bytes/workgroup (compile time only)
; SGPRBlocks: 2
; VGPRBlocks: 1
; NumSGPRsForWavesPerEU: 18
; NumVGPRsForWavesPerEU: 9
; Occupancy: 16
; WaveLimiterHint : 0
; COMPUTE_PGM_RSRC2:SCRATCH_EN: 0
; COMPUTE_PGM_RSRC2:USER_SGPR: 15
; COMPUTE_PGM_RSRC2:TRAP_HANDLER: 0
; COMPUTE_PGM_RSRC2:TGID_X_EN: 1
; COMPUTE_PGM_RSRC2:TGID_Y_EN: 0
; COMPUTE_PGM_RSRC2:TGID_Z_EN: 0
; COMPUTE_PGM_RSRC2:TIDIG_COMP_CNT: 0
	.section	.text._Z33head_segmented_warp_reduce_kernelI12hip_bfloat16hLj32ELj4EENSt9enable_ifIXsr10test_utilsE35device_test_enabled_for_warp_size_vIXT2_EEEvE4typeEPT_PT0_S5_,"axG",@progbits,_Z33head_segmented_warp_reduce_kernelI12hip_bfloat16hLj32ELj4EENSt9enable_ifIXsr10test_utilsE35device_test_enabled_for_warp_size_vIXT2_EEEvE4typeEPT_PT0_S5_,comdat
	.protected	_Z33head_segmented_warp_reduce_kernelI12hip_bfloat16hLj32ELj4EENSt9enable_ifIXsr10test_utilsE35device_test_enabled_for_warp_size_vIXT2_EEEvE4typeEPT_PT0_S5_ ; -- Begin function _Z33head_segmented_warp_reduce_kernelI12hip_bfloat16hLj32ELj4EENSt9enable_ifIXsr10test_utilsE35device_test_enabled_for_warp_size_vIXT2_EEEvE4typeEPT_PT0_S5_
	.globl	_Z33head_segmented_warp_reduce_kernelI12hip_bfloat16hLj32ELj4EENSt9enable_ifIXsr10test_utilsE35device_test_enabled_for_warp_size_vIXT2_EEEvE4typeEPT_PT0_S5_
	.p2align	8
	.type	_Z33head_segmented_warp_reduce_kernelI12hip_bfloat16hLj32ELj4EENSt9enable_ifIXsr10test_utilsE35device_test_enabled_for_warp_size_vIXT2_EEEvE4typeEPT_PT0_S5_,@function
_Z33head_segmented_warp_reduce_kernelI12hip_bfloat16hLj32ELj4EENSt9enable_ifIXsr10test_utilsE35device_test_enabled_for_warp_size_vIXT2_EEEvE4typeEPT_PT0_S5_: ; @_Z33head_segmented_warp_reduce_kernelI12hip_bfloat16hLj32ELj4EENSt9enable_ifIXsr10test_utilsE35device_test_enabled_for_warp_size_vIXT2_EEEvE4typeEPT_PT0_S5_
; %bb.0:
	s_clause 0x1
	s_load_b32 s2, s[0:1], 0x24
	s_load_b128 s[4:7], s[0:1], 0x0
	s_waitcnt lgkmcnt(0)
	s_and_b32 s2, s2, 0xffff
	s_delay_alu instid0(SALU_CYCLE_1) | instskip(SKIP_2) | instid1(VALU_DEP_1)
	v_mad_u64_u32 v[2:3], null, s15, s2, v[0:1]
	v_mov_b32_e32 v3, 0
	s_load_b64 s[2:3], s[0:1], 0x10
	v_lshlrev_b64 v[0:1], 1, v[2:3]
	global_load_u8 v5, v2, s[6:7]
	v_add_co_u32 v2, vcc_lo, s4, v0
	v_add_co_ci_u32_e32 v3, vcc_lo, s5, v1, vcc_lo
	global_load_u16 v4, v[2:3], off
	v_mbcnt_lo_u32_b32 v2, -1, 0
	s_delay_alu instid0(VALU_DEP_1) | instskip(SKIP_1) | instid1(VALU_DEP_1)
	v_and_b32_e32 v8, 28, v2
	v_and_b32_e32 v3, 3, v2
	v_cmp_ne_u32_e64 s0, 3, v3
	s_delay_alu instid0(VALU_DEP_1) | instskip(NEXT) | instid1(VALU_DEP_1)
	v_add_co_ci_u32_e64 v7, s0, 0, v2, s0
	v_lshlrev_b32_e32 v7, 2, v7
	s_waitcnt vmcnt(1)
	v_cmp_ne_u16_e32 vcc_lo, 0, v5
	v_lshlrev_b32_e64 v5, v2, -1
	s_lshr_b32 s0, vcc_lo, 1
	s_delay_alu instid0(VALU_DEP_1) | instid1(SALU_CYCLE_1)
	v_and_b32_e32 v5, s0, v5
	s_mov_b32 s0, exec_lo
	s_delay_alu instid0(VALU_DEP_1) | instskip(SKIP_2) | instid1(VALU_DEP_2)
	v_lshrrev_b32_e32 v5, v8, v5
	s_waitcnt vmcnt(0)
	v_and_b32_e32 v6, 0xffff, v4
	v_or_b32_e32 v5, 8, v5
	ds_bpermute_b32 v7, v7, v6
	v_ctz_i32_b32_e32 v5, v5
	s_delay_alu instid0(VALU_DEP_1)
	v_cmpx_lt_u32_e64 v3, v5
	s_cbranch_execz .LBB153_6
; %bb.1:
	v_lshlrev_b32_e32 v4, 16, v6
	s_waitcnt lgkmcnt(0)
	v_lshlrev_b32_e32 v6, 16, v7
	s_delay_alu instid0(VALU_DEP_1) | instskip(NEXT) | instid1(VALU_DEP_1)
	v_add_f32_e32 v4, v4, v6
	v_and_b32_e32 v6, 0x7f800000, v4
	s_delay_alu instid0(VALU_DEP_1) | instskip(SKIP_1) | instid1(SALU_CYCLE_1)
	v_cmp_ne_u32_e32 vcc_lo, 0x7f800000, v6
                                        ; implicit-def: $vgpr6
	s_and_saveexec_b32 s1, vcc_lo
	s_xor_b32 s1, exec_lo, s1
; %bb.2:
	v_bfe_u32 v6, v4, 16, 1
	s_delay_alu instid0(VALU_DEP_1)
	v_add3_u32 v6, v4, v6, 0x7fff
                                        ; implicit-def: $vgpr4
; %bb.3:
	s_and_not1_saveexec_b32 s1, s1
; %bb.4:
	v_and_b32_e32 v6, 0xffff, v4
	v_or_b32_e32 v7, 0x10000, v4
	s_delay_alu instid0(VALU_DEP_2) | instskip(NEXT) | instid1(VALU_DEP_2)
	v_cmp_eq_u32_e32 vcc_lo, 0, v6
	v_cndmask_b32_e32 v6, v7, v4, vcc_lo
; %bb.5:
	s_or_b32 exec_lo, exec_lo, s1
	s_delay_alu instid0(VALU_DEP_1) | instskip(NEXT) | instid1(VALU_DEP_1)
	v_lshrrev_b32_e32 v6, 16, v6
	v_mov_b32_e32 v4, v6
.LBB153_6:
	s_or_b32 exec_lo, exec_lo, s0
	v_cmp_gt_u32_e32 vcc_lo, 2, v3
	v_add_nc_u32_e32 v3, 2, v3
	s_mov_b32 s0, exec_lo
	s_waitcnt lgkmcnt(0)
	v_cndmask_b32_e64 v7, 0, 1, vcc_lo
	s_delay_alu instid0(VALU_DEP_1) | instskip(NEXT) | instid1(VALU_DEP_1)
	v_lshlrev_b32_e32 v7, 1, v7
	v_add_lshl_u32 v2, v7, v2, 2
	ds_bpermute_b32 v2, v2, v6
	v_cmpx_le_u32_e64 v3, v5
	s_cbranch_execz .LBB153_12
; %bb.7:
	v_lshlrev_b32_e32 v3, 16, v6
	s_waitcnt lgkmcnt(0)
	v_lshlrev_b32_e32 v2, 16, v2
	s_delay_alu instid0(VALU_DEP_1) | instskip(NEXT) | instid1(VALU_DEP_1)
	v_add_f32_e32 v2, v3, v2
	v_and_b32_e32 v3, 0x7f800000, v2
	s_delay_alu instid0(VALU_DEP_1) | instskip(SKIP_1) | instid1(SALU_CYCLE_1)
	v_cmp_ne_u32_e32 vcc_lo, 0x7f800000, v3
                                        ; implicit-def: $vgpr3
	s_and_saveexec_b32 s1, vcc_lo
	s_xor_b32 s1, exec_lo, s1
; %bb.8:
	v_bfe_u32 v3, v2, 16, 1
	s_delay_alu instid0(VALU_DEP_1)
	v_add3_u32 v3, v2, v3, 0x7fff
                                        ; implicit-def: $vgpr2
; %bb.9:
	s_and_not1_saveexec_b32 s1, s1
; %bb.10:
	v_and_b32_e32 v3, 0xffff, v2
	v_or_b32_e32 v4, 0x10000, v2
	s_delay_alu instid0(VALU_DEP_2) | instskip(NEXT) | instid1(VALU_DEP_2)
	v_cmp_eq_u32_e32 vcc_lo, 0, v3
	v_cndmask_b32_e32 v3, v4, v2, vcc_lo
; %bb.11:
	s_or_b32 exec_lo, exec_lo, s1
	s_delay_alu instid0(VALU_DEP_1)
	v_lshrrev_b32_e32 v4, 16, v3
.LBB153_12:
	s_or_b32 exec_lo, exec_lo, s0
	v_add_co_u32 v0, vcc_lo, s2, v0
	v_add_co_ci_u32_e32 v1, vcc_lo, s3, v1, vcc_lo
	global_store_b16 v[0:1], v4, off
	s_nop 0
	s_sendmsg sendmsg(MSG_DEALLOC_VGPRS)
	s_endpgm
	.section	.rodata,"a",@progbits
	.p2align	6, 0x0
	.amdhsa_kernel _Z33head_segmented_warp_reduce_kernelI12hip_bfloat16hLj32ELj4EENSt9enable_ifIXsr10test_utilsE35device_test_enabled_for_warp_size_vIXT2_EEEvE4typeEPT_PT0_S5_
		.amdhsa_group_segment_fixed_size 0
		.amdhsa_private_segment_fixed_size 0
		.amdhsa_kernarg_size 280
		.amdhsa_user_sgpr_count 15
		.amdhsa_user_sgpr_dispatch_ptr 0
		.amdhsa_user_sgpr_queue_ptr 0
		.amdhsa_user_sgpr_kernarg_segment_ptr 1
		.amdhsa_user_sgpr_dispatch_id 0
		.amdhsa_user_sgpr_private_segment_size 0
		.amdhsa_wavefront_size32 1
		.amdhsa_uses_dynamic_stack 0
		.amdhsa_enable_private_segment 0
		.amdhsa_system_sgpr_workgroup_id_x 1
		.amdhsa_system_sgpr_workgroup_id_y 0
		.amdhsa_system_sgpr_workgroup_id_z 0
		.amdhsa_system_sgpr_workgroup_info 0
		.amdhsa_system_vgpr_workitem_id 0
		.amdhsa_next_free_vgpr 9
		.amdhsa_next_free_sgpr 16
		.amdhsa_reserve_vcc 1
		.amdhsa_float_round_mode_32 0
		.amdhsa_float_round_mode_16_64 0
		.amdhsa_float_denorm_mode_32 3
		.amdhsa_float_denorm_mode_16_64 3
		.amdhsa_dx10_clamp 1
		.amdhsa_ieee_mode 1
		.amdhsa_fp16_overflow 0
		.amdhsa_workgroup_processor_mode 1
		.amdhsa_memory_ordered 1
		.amdhsa_forward_progress 0
		.amdhsa_shared_vgpr_count 0
		.amdhsa_exception_fp_ieee_invalid_op 0
		.amdhsa_exception_fp_denorm_src 0
		.amdhsa_exception_fp_ieee_div_zero 0
		.amdhsa_exception_fp_ieee_overflow 0
		.amdhsa_exception_fp_ieee_underflow 0
		.amdhsa_exception_fp_ieee_inexact 0
		.amdhsa_exception_int_div_zero 0
	.end_amdhsa_kernel
	.section	.text._Z33head_segmented_warp_reduce_kernelI12hip_bfloat16hLj32ELj4EENSt9enable_ifIXsr10test_utilsE35device_test_enabled_for_warp_size_vIXT2_EEEvE4typeEPT_PT0_S5_,"axG",@progbits,_Z33head_segmented_warp_reduce_kernelI12hip_bfloat16hLj32ELj4EENSt9enable_ifIXsr10test_utilsE35device_test_enabled_for_warp_size_vIXT2_EEEvE4typeEPT_PT0_S5_,comdat
.Lfunc_end153:
	.size	_Z33head_segmented_warp_reduce_kernelI12hip_bfloat16hLj32ELj4EENSt9enable_ifIXsr10test_utilsE35device_test_enabled_for_warp_size_vIXT2_EEEvE4typeEPT_PT0_S5_, .Lfunc_end153-_Z33head_segmented_warp_reduce_kernelI12hip_bfloat16hLj32ELj4EENSt9enable_ifIXsr10test_utilsE35device_test_enabled_for_warp_size_vIXT2_EEEvE4typeEPT_PT0_S5_
                                        ; -- End function
	.section	.AMDGPU.csdata,"",@progbits
; Kernel info:
; codeLenInByte = 556
; NumSgprs: 18
; NumVgprs: 9
; ScratchSize: 0
; MemoryBound: 0
; FloatMode: 240
; IeeeMode: 1
; LDSByteSize: 0 bytes/workgroup (compile time only)
; SGPRBlocks: 2
; VGPRBlocks: 1
; NumSGPRsForWavesPerEU: 18
; NumVGPRsForWavesPerEU: 9
; Occupancy: 16
; WaveLimiterHint : 0
; COMPUTE_PGM_RSRC2:SCRATCH_EN: 0
; COMPUTE_PGM_RSRC2:USER_SGPR: 15
; COMPUTE_PGM_RSRC2:TRAP_HANDLER: 0
; COMPUTE_PGM_RSRC2:TGID_X_EN: 1
; COMPUTE_PGM_RSRC2:TGID_Y_EN: 0
; COMPUTE_PGM_RSRC2:TGID_Z_EN: 0
; COMPUTE_PGM_RSRC2:TIDIG_COMP_CNT: 0
	.section	.text._Z33head_segmented_warp_reduce_kernelI12hip_bfloat16hLj64ELj4EENSt9enable_ifIXsr10test_utilsE35device_test_enabled_for_warp_size_vIXT2_EEEvE4typeEPT_PT0_S5_,"axG",@progbits,_Z33head_segmented_warp_reduce_kernelI12hip_bfloat16hLj64ELj4EENSt9enable_ifIXsr10test_utilsE35device_test_enabled_for_warp_size_vIXT2_EEEvE4typeEPT_PT0_S5_,comdat
	.protected	_Z33head_segmented_warp_reduce_kernelI12hip_bfloat16hLj64ELj4EENSt9enable_ifIXsr10test_utilsE35device_test_enabled_for_warp_size_vIXT2_EEEvE4typeEPT_PT0_S5_ ; -- Begin function _Z33head_segmented_warp_reduce_kernelI12hip_bfloat16hLj64ELj4EENSt9enable_ifIXsr10test_utilsE35device_test_enabled_for_warp_size_vIXT2_EEEvE4typeEPT_PT0_S5_
	.globl	_Z33head_segmented_warp_reduce_kernelI12hip_bfloat16hLj64ELj4EENSt9enable_ifIXsr10test_utilsE35device_test_enabled_for_warp_size_vIXT2_EEEvE4typeEPT_PT0_S5_
	.p2align	8
	.type	_Z33head_segmented_warp_reduce_kernelI12hip_bfloat16hLj64ELj4EENSt9enable_ifIXsr10test_utilsE35device_test_enabled_for_warp_size_vIXT2_EEEvE4typeEPT_PT0_S5_,@function
_Z33head_segmented_warp_reduce_kernelI12hip_bfloat16hLj64ELj4EENSt9enable_ifIXsr10test_utilsE35device_test_enabled_for_warp_size_vIXT2_EEEvE4typeEPT_PT0_S5_: ; @_Z33head_segmented_warp_reduce_kernelI12hip_bfloat16hLj64ELj4EENSt9enable_ifIXsr10test_utilsE35device_test_enabled_for_warp_size_vIXT2_EEEvE4typeEPT_PT0_S5_
; %bb.0:
	s_clause 0x1
	s_load_b32 s2, s[0:1], 0x24
	s_load_b128 s[4:7], s[0:1], 0x0
	s_waitcnt lgkmcnt(0)
	s_and_b32 s2, s2, 0xffff
	s_delay_alu instid0(SALU_CYCLE_1) | instskip(SKIP_2) | instid1(VALU_DEP_1)
	v_mad_u64_u32 v[2:3], null, s15, s2, v[0:1]
	v_mov_b32_e32 v3, 0
	s_load_b64 s[2:3], s[0:1], 0x10
	v_lshlrev_b64 v[0:1], 1, v[2:3]
	global_load_u8 v5, v2, s[6:7]
	v_add_co_u32 v2, vcc_lo, s4, v0
	v_add_co_ci_u32_e32 v3, vcc_lo, s5, v1, vcc_lo
	global_load_u16 v4, v[2:3], off
	v_mbcnt_lo_u32_b32 v2, -1, 0
	s_delay_alu instid0(VALU_DEP_1) | instskip(SKIP_1) | instid1(VALU_DEP_1)
	v_and_b32_e32 v8, 28, v2
	v_and_b32_e32 v3, 3, v2
	v_cmp_ne_u32_e64 s0, 3, v3
	s_delay_alu instid0(VALU_DEP_1) | instskip(NEXT) | instid1(VALU_DEP_1)
	v_add_co_ci_u32_e64 v7, s0, 0, v2, s0
	v_lshlrev_b32_e32 v7, 2, v7
	s_waitcnt vmcnt(1)
	v_cmp_ne_u16_e32 vcc_lo, 0, v5
	v_lshlrev_b32_e64 v5, v2, -1
	s_lshr_b32 s0, vcc_lo, 1
	s_delay_alu instid0(VALU_DEP_1) | instid1(SALU_CYCLE_1)
	v_and_b32_e32 v5, s0, v5
	s_mov_b32 s0, exec_lo
	s_delay_alu instid0(VALU_DEP_1) | instskip(SKIP_2) | instid1(VALU_DEP_2)
	v_lshrrev_b32_e32 v5, v8, v5
	s_waitcnt vmcnt(0)
	v_and_b32_e32 v6, 0xffff, v4
	v_or_b32_e32 v5, 8, v5
	ds_bpermute_b32 v7, v7, v6
	v_ctz_i32_b32_e32 v5, v5
	s_delay_alu instid0(VALU_DEP_1)
	v_cmpx_lt_u32_e64 v3, v5
	s_cbranch_execz .LBB154_6
; %bb.1:
	v_lshlrev_b32_e32 v4, 16, v6
	s_waitcnt lgkmcnt(0)
	v_lshlrev_b32_e32 v6, 16, v7
	s_delay_alu instid0(VALU_DEP_1) | instskip(NEXT) | instid1(VALU_DEP_1)
	v_add_f32_e32 v4, v4, v6
	v_and_b32_e32 v6, 0x7f800000, v4
	s_delay_alu instid0(VALU_DEP_1) | instskip(SKIP_1) | instid1(SALU_CYCLE_1)
	v_cmp_ne_u32_e32 vcc_lo, 0x7f800000, v6
                                        ; implicit-def: $vgpr6
	s_and_saveexec_b32 s1, vcc_lo
	s_xor_b32 s1, exec_lo, s1
; %bb.2:
	v_bfe_u32 v6, v4, 16, 1
	s_delay_alu instid0(VALU_DEP_1)
	v_add3_u32 v6, v4, v6, 0x7fff
                                        ; implicit-def: $vgpr4
; %bb.3:
	s_and_not1_saveexec_b32 s1, s1
; %bb.4:
	v_and_b32_e32 v6, 0xffff, v4
	v_or_b32_e32 v7, 0x10000, v4
	s_delay_alu instid0(VALU_DEP_2) | instskip(NEXT) | instid1(VALU_DEP_2)
	v_cmp_eq_u32_e32 vcc_lo, 0, v6
	v_cndmask_b32_e32 v6, v7, v4, vcc_lo
; %bb.5:
	s_or_b32 exec_lo, exec_lo, s1
	s_delay_alu instid0(VALU_DEP_1) | instskip(NEXT) | instid1(VALU_DEP_1)
	v_lshrrev_b32_e32 v6, 16, v6
	v_mov_b32_e32 v4, v6
.LBB154_6:
	s_or_b32 exec_lo, exec_lo, s0
	v_cmp_gt_u32_e32 vcc_lo, 2, v3
	v_add_nc_u32_e32 v3, 2, v3
	s_mov_b32 s0, exec_lo
	s_waitcnt lgkmcnt(0)
	v_cndmask_b32_e64 v7, 0, 1, vcc_lo
	s_delay_alu instid0(VALU_DEP_1) | instskip(NEXT) | instid1(VALU_DEP_1)
	v_lshlrev_b32_e32 v7, 1, v7
	v_add_lshl_u32 v2, v7, v2, 2
	ds_bpermute_b32 v2, v2, v6
	v_cmpx_le_u32_e64 v3, v5
	s_cbranch_execz .LBB154_12
; %bb.7:
	v_lshlrev_b32_e32 v3, 16, v6
	s_waitcnt lgkmcnt(0)
	v_lshlrev_b32_e32 v2, 16, v2
	s_delay_alu instid0(VALU_DEP_1) | instskip(NEXT) | instid1(VALU_DEP_1)
	v_add_f32_e32 v2, v3, v2
	v_and_b32_e32 v3, 0x7f800000, v2
	s_delay_alu instid0(VALU_DEP_1) | instskip(SKIP_1) | instid1(SALU_CYCLE_1)
	v_cmp_ne_u32_e32 vcc_lo, 0x7f800000, v3
                                        ; implicit-def: $vgpr3
	s_and_saveexec_b32 s1, vcc_lo
	s_xor_b32 s1, exec_lo, s1
; %bb.8:
	v_bfe_u32 v3, v2, 16, 1
	s_delay_alu instid0(VALU_DEP_1)
	v_add3_u32 v3, v2, v3, 0x7fff
                                        ; implicit-def: $vgpr2
; %bb.9:
	s_and_not1_saveexec_b32 s1, s1
; %bb.10:
	v_and_b32_e32 v3, 0xffff, v2
	v_or_b32_e32 v4, 0x10000, v2
	s_delay_alu instid0(VALU_DEP_2) | instskip(NEXT) | instid1(VALU_DEP_2)
	v_cmp_eq_u32_e32 vcc_lo, 0, v3
	v_cndmask_b32_e32 v3, v4, v2, vcc_lo
; %bb.11:
	s_or_b32 exec_lo, exec_lo, s1
	s_delay_alu instid0(VALU_DEP_1)
	v_lshrrev_b32_e32 v4, 16, v3
.LBB154_12:
	s_or_b32 exec_lo, exec_lo, s0
	v_add_co_u32 v0, vcc_lo, s2, v0
	v_add_co_ci_u32_e32 v1, vcc_lo, s3, v1, vcc_lo
	global_store_b16 v[0:1], v4, off
	s_nop 0
	s_sendmsg sendmsg(MSG_DEALLOC_VGPRS)
	s_endpgm
	.section	.rodata,"a",@progbits
	.p2align	6, 0x0
	.amdhsa_kernel _Z33head_segmented_warp_reduce_kernelI12hip_bfloat16hLj64ELj4EENSt9enable_ifIXsr10test_utilsE35device_test_enabled_for_warp_size_vIXT2_EEEvE4typeEPT_PT0_S5_
		.amdhsa_group_segment_fixed_size 0
		.amdhsa_private_segment_fixed_size 0
		.amdhsa_kernarg_size 280
		.amdhsa_user_sgpr_count 15
		.amdhsa_user_sgpr_dispatch_ptr 0
		.amdhsa_user_sgpr_queue_ptr 0
		.amdhsa_user_sgpr_kernarg_segment_ptr 1
		.amdhsa_user_sgpr_dispatch_id 0
		.amdhsa_user_sgpr_private_segment_size 0
		.amdhsa_wavefront_size32 1
		.amdhsa_uses_dynamic_stack 0
		.amdhsa_enable_private_segment 0
		.amdhsa_system_sgpr_workgroup_id_x 1
		.amdhsa_system_sgpr_workgroup_id_y 0
		.amdhsa_system_sgpr_workgroup_id_z 0
		.amdhsa_system_sgpr_workgroup_info 0
		.amdhsa_system_vgpr_workitem_id 0
		.amdhsa_next_free_vgpr 9
		.amdhsa_next_free_sgpr 16
		.amdhsa_reserve_vcc 1
		.amdhsa_float_round_mode_32 0
		.amdhsa_float_round_mode_16_64 0
		.amdhsa_float_denorm_mode_32 3
		.amdhsa_float_denorm_mode_16_64 3
		.amdhsa_dx10_clamp 1
		.amdhsa_ieee_mode 1
		.amdhsa_fp16_overflow 0
		.amdhsa_workgroup_processor_mode 1
		.amdhsa_memory_ordered 1
		.amdhsa_forward_progress 0
		.amdhsa_shared_vgpr_count 0
		.amdhsa_exception_fp_ieee_invalid_op 0
		.amdhsa_exception_fp_denorm_src 0
		.amdhsa_exception_fp_ieee_div_zero 0
		.amdhsa_exception_fp_ieee_overflow 0
		.amdhsa_exception_fp_ieee_underflow 0
		.amdhsa_exception_fp_ieee_inexact 0
		.amdhsa_exception_int_div_zero 0
	.end_amdhsa_kernel
	.section	.text._Z33head_segmented_warp_reduce_kernelI12hip_bfloat16hLj64ELj4EENSt9enable_ifIXsr10test_utilsE35device_test_enabled_for_warp_size_vIXT2_EEEvE4typeEPT_PT0_S5_,"axG",@progbits,_Z33head_segmented_warp_reduce_kernelI12hip_bfloat16hLj64ELj4EENSt9enable_ifIXsr10test_utilsE35device_test_enabled_for_warp_size_vIXT2_EEEvE4typeEPT_PT0_S5_,comdat
.Lfunc_end154:
	.size	_Z33head_segmented_warp_reduce_kernelI12hip_bfloat16hLj64ELj4EENSt9enable_ifIXsr10test_utilsE35device_test_enabled_for_warp_size_vIXT2_EEEvE4typeEPT_PT0_S5_, .Lfunc_end154-_Z33head_segmented_warp_reduce_kernelI12hip_bfloat16hLj64ELj4EENSt9enable_ifIXsr10test_utilsE35device_test_enabled_for_warp_size_vIXT2_EEEvE4typeEPT_PT0_S5_
                                        ; -- End function
	.section	.AMDGPU.csdata,"",@progbits
; Kernel info:
; codeLenInByte = 556
; NumSgprs: 18
; NumVgprs: 9
; ScratchSize: 0
; MemoryBound: 0
; FloatMode: 240
; IeeeMode: 1
; LDSByteSize: 0 bytes/workgroup (compile time only)
; SGPRBlocks: 2
; VGPRBlocks: 1
; NumSGPRsForWavesPerEU: 18
; NumVGPRsForWavesPerEU: 9
; Occupancy: 16
; WaveLimiterHint : 0
; COMPUTE_PGM_RSRC2:SCRATCH_EN: 0
; COMPUTE_PGM_RSRC2:USER_SGPR: 15
; COMPUTE_PGM_RSRC2:TRAP_HANDLER: 0
; COMPUTE_PGM_RSRC2:TGID_X_EN: 1
; COMPUTE_PGM_RSRC2:TGID_Y_EN: 0
; COMPUTE_PGM_RSRC2:TGID_Z_EN: 0
; COMPUTE_PGM_RSRC2:TIDIG_COMP_CNT: 0
	.section	.text._Z33head_segmented_warp_reduce_kernelI12hip_bfloat16hLj32ELj2EENSt9enable_ifIXsr10test_utilsE35device_test_enabled_for_warp_size_vIXT2_EEEvE4typeEPT_PT0_S5_,"axG",@progbits,_Z33head_segmented_warp_reduce_kernelI12hip_bfloat16hLj32ELj2EENSt9enable_ifIXsr10test_utilsE35device_test_enabled_for_warp_size_vIXT2_EEEvE4typeEPT_PT0_S5_,comdat
	.protected	_Z33head_segmented_warp_reduce_kernelI12hip_bfloat16hLj32ELj2EENSt9enable_ifIXsr10test_utilsE35device_test_enabled_for_warp_size_vIXT2_EEEvE4typeEPT_PT0_S5_ ; -- Begin function _Z33head_segmented_warp_reduce_kernelI12hip_bfloat16hLj32ELj2EENSt9enable_ifIXsr10test_utilsE35device_test_enabled_for_warp_size_vIXT2_EEEvE4typeEPT_PT0_S5_
	.globl	_Z33head_segmented_warp_reduce_kernelI12hip_bfloat16hLj32ELj2EENSt9enable_ifIXsr10test_utilsE35device_test_enabled_for_warp_size_vIXT2_EEEvE4typeEPT_PT0_S5_
	.p2align	8
	.type	_Z33head_segmented_warp_reduce_kernelI12hip_bfloat16hLj32ELj2EENSt9enable_ifIXsr10test_utilsE35device_test_enabled_for_warp_size_vIXT2_EEEvE4typeEPT_PT0_S5_,@function
_Z33head_segmented_warp_reduce_kernelI12hip_bfloat16hLj32ELj2EENSt9enable_ifIXsr10test_utilsE35device_test_enabled_for_warp_size_vIXT2_EEEvE4typeEPT_PT0_S5_: ; @_Z33head_segmented_warp_reduce_kernelI12hip_bfloat16hLj32ELj2EENSt9enable_ifIXsr10test_utilsE35device_test_enabled_for_warp_size_vIXT2_EEEvE4typeEPT_PT0_S5_
; %bb.0:
	s_clause 0x1
	s_load_b32 s2, s[0:1], 0x24
	s_load_b128 s[4:7], s[0:1], 0x0
	v_mbcnt_lo_u32_b32 v5, -1, 0
	s_load_b64 s[0:1], s[0:1], 0x10
	s_delay_alu instid0(VALU_DEP_1) | instskip(SKIP_2) | instid1(SALU_CYCLE_1)
	v_lshl_or_b32 v7, v5, 2, 4
	s_waitcnt lgkmcnt(0)
	s_and_b32 s2, s2, 0xffff
	v_mad_u64_u32 v[2:3], null, s15, s2, v[0:1]
	v_mov_b32_e32 v3, 0
	s_delay_alu instid0(VALU_DEP_1)
	v_lshlrev_b64 v[0:1], 1, v[2:3]
	global_load_u8 v4, v2, s[6:7]
	v_add_co_u32 v2, vcc_lo, s4, v0
	v_add_co_ci_u32_e32 v3, vcc_lo, s5, v1, vcc_lo
	global_load_u16 v2, v[2:3], off
	v_lshlrev_b32_e64 v3, v5, -1
	s_waitcnt vmcnt(1)
	v_cmp_ne_u16_e32 vcc_lo, 0, v4
	v_and_b32_e32 v4, 30, v5
	v_and_b32_e32 v5, 1, v5
	s_lshr_b32 s2, vcc_lo, 1
	s_delay_alu instid0(SALU_CYCLE_1) | instskip(SKIP_1) | instid1(VALU_DEP_1)
	v_and_b32_e32 v6, s2, v3
	s_mov_b32 s2, exec_lo
	v_lshrrev_b32_e32 v6, v4, v6
	s_waitcnt vmcnt(0)
	v_and_b32_e32 v3, 0xffff, v2
	s_delay_alu instid0(VALU_DEP_2) | instskip(SKIP_2) | instid1(VALU_DEP_1)
	v_or_b32_e32 v6, 2, v6
	ds_bpermute_b32 v4, v7, v3
	v_ctz_i32_b32_e32 v6, v6
	v_cmpx_lt_u32_e64 v5, v6
	s_cbranch_execz .LBB155_6
; %bb.1:
	v_lshlrev_b32_e32 v2, 16, v3
	s_waitcnt lgkmcnt(0)
	v_lshlrev_b32_e32 v3, 16, v4
	s_delay_alu instid0(VALU_DEP_1) | instskip(NEXT) | instid1(VALU_DEP_1)
	v_add_f32_e32 v2, v2, v3
	v_and_b32_e32 v3, 0x7f800000, v2
	s_delay_alu instid0(VALU_DEP_1) | instskip(SKIP_1) | instid1(SALU_CYCLE_1)
	v_cmp_ne_u32_e32 vcc_lo, 0x7f800000, v3
                                        ; implicit-def: $vgpr3
	s_and_saveexec_b32 s3, vcc_lo
	s_xor_b32 s3, exec_lo, s3
; %bb.2:
	v_bfe_u32 v3, v2, 16, 1
	s_delay_alu instid0(VALU_DEP_1)
	v_add3_u32 v3, v2, v3, 0x7fff
                                        ; implicit-def: $vgpr2
; %bb.3:
	s_and_not1_saveexec_b32 s3, s3
; %bb.4:
	v_and_b32_e32 v3, 0xffff, v2
	v_or_b32_e32 v4, 0x10000, v2
	s_delay_alu instid0(VALU_DEP_2) | instskip(NEXT) | instid1(VALU_DEP_2)
	v_cmp_eq_u32_e32 vcc_lo, 0, v3
	v_cndmask_b32_e32 v3, v4, v2, vcc_lo
; %bb.5:
	s_or_b32 exec_lo, exec_lo, s3
	s_delay_alu instid0(VALU_DEP_1)
	v_lshrrev_b32_e32 v2, 16, v3
.LBB155_6:
	s_or_b32 exec_lo, exec_lo, s2
	v_add_co_u32 v0, vcc_lo, s0, v0
	v_add_co_ci_u32_e32 v1, vcc_lo, s1, v1, vcc_lo
	global_store_b16 v[0:1], v2, off
	s_nop 0
	s_sendmsg sendmsg(MSG_DEALLOC_VGPRS)
	s_endpgm
	.section	.rodata,"a",@progbits
	.p2align	6, 0x0
	.amdhsa_kernel _Z33head_segmented_warp_reduce_kernelI12hip_bfloat16hLj32ELj2EENSt9enable_ifIXsr10test_utilsE35device_test_enabled_for_warp_size_vIXT2_EEEvE4typeEPT_PT0_S5_
		.amdhsa_group_segment_fixed_size 0
		.amdhsa_private_segment_fixed_size 0
		.amdhsa_kernarg_size 280
		.amdhsa_user_sgpr_count 15
		.amdhsa_user_sgpr_dispatch_ptr 0
		.amdhsa_user_sgpr_queue_ptr 0
		.amdhsa_user_sgpr_kernarg_segment_ptr 1
		.amdhsa_user_sgpr_dispatch_id 0
		.amdhsa_user_sgpr_private_segment_size 0
		.amdhsa_wavefront_size32 1
		.amdhsa_uses_dynamic_stack 0
		.amdhsa_enable_private_segment 0
		.amdhsa_system_sgpr_workgroup_id_x 1
		.amdhsa_system_sgpr_workgroup_id_y 0
		.amdhsa_system_sgpr_workgroup_id_z 0
		.amdhsa_system_sgpr_workgroup_info 0
		.amdhsa_system_vgpr_workitem_id 0
		.amdhsa_next_free_vgpr 8
		.amdhsa_next_free_sgpr 16
		.amdhsa_reserve_vcc 1
		.amdhsa_float_round_mode_32 0
		.amdhsa_float_round_mode_16_64 0
		.amdhsa_float_denorm_mode_32 3
		.amdhsa_float_denorm_mode_16_64 3
		.amdhsa_dx10_clamp 1
		.amdhsa_ieee_mode 1
		.amdhsa_fp16_overflow 0
		.amdhsa_workgroup_processor_mode 1
		.amdhsa_memory_ordered 1
		.amdhsa_forward_progress 0
		.amdhsa_shared_vgpr_count 0
		.amdhsa_exception_fp_ieee_invalid_op 0
		.amdhsa_exception_fp_denorm_src 0
		.amdhsa_exception_fp_ieee_div_zero 0
		.amdhsa_exception_fp_ieee_overflow 0
		.amdhsa_exception_fp_ieee_underflow 0
		.amdhsa_exception_fp_ieee_inexact 0
		.amdhsa_exception_int_div_zero 0
	.end_amdhsa_kernel
	.section	.text._Z33head_segmented_warp_reduce_kernelI12hip_bfloat16hLj32ELj2EENSt9enable_ifIXsr10test_utilsE35device_test_enabled_for_warp_size_vIXT2_EEEvE4typeEPT_PT0_S5_,"axG",@progbits,_Z33head_segmented_warp_reduce_kernelI12hip_bfloat16hLj32ELj2EENSt9enable_ifIXsr10test_utilsE35device_test_enabled_for_warp_size_vIXT2_EEEvE4typeEPT_PT0_S5_,comdat
.Lfunc_end155:
	.size	_Z33head_segmented_warp_reduce_kernelI12hip_bfloat16hLj32ELj2EENSt9enable_ifIXsr10test_utilsE35device_test_enabled_for_warp_size_vIXT2_EEEvE4typeEPT_PT0_S5_, .Lfunc_end155-_Z33head_segmented_warp_reduce_kernelI12hip_bfloat16hLj32ELj2EENSt9enable_ifIXsr10test_utilsE35device_test_enabled_for_warp_size_vIXT2_EEEvE4typeEPT_PT0_S5_
                                        ; -- End function
	.section	.AMDGPU.csdata,"",@progbits
; Kernel info:
; codeLenInByte = 352
; NumSgprs: 18
; NumVgprs: 8
; ScratchSize: 0
; MemoryBound: 0
; FloatMode: 240
; IeeeMode: 1
; LDSByteSize: 0 bytes/workgroup (compile time only)
; SGPRBlocks: 2
; VGPRBlocks: 0
; NumSGPRsForWavesPerEU: 18
; NumVGPRsForWavesPerEU: 8
; Occupancy: 16
; WaveLimiterHint : 0
; COMPUTE_PGM_RSRC2:SCRATCH_EN: 0
; COMPUTE_PGM_RSRC2:USER_SGPR: 15
; COMPUTE_PGM_RSRC2:TRAP_HANDLER: 0
; COMPUTE_PGM_RSRC2:TGID_X_EN: 1
; COMPUTE_PGM_RSRC2:TGID_Y_EN: 0
; COMPUTE_PGM_RSRC2:TGID_Z_EN: 0
; COMPUTE_PGM_RSRC2:TIDIG_COMP_CNT: 0
	.section	.text._Z33head_segmented_warp_reduce_kernelI12hip_bfloat16hLj64ELj2EENSt9enable_ifIXsr10test_utilsE35device_test_enabled_for_warp_size_vIXT2_EEEvE4typeEPT_PT0_S5_,"axG",@progbits,_Z33head_segmented_warp_reduce_kernelI12hip_bfloat16hLj64ELj2EENSt9enable_ifIXsr10test_utilsE35device_test_enabled_for_warp_size_vIXT2_EEEvE4typeEPT_PT0_S5_,comdat
	.protected	_Z33head_segmented_warp_reduce_kernelI12hip_bfloat16hLj64ELj2EENSt9enable_ifIXsr10test_utilsE35device_test_enabled_for_warp_size_vIXT2_EEEvE4typeEPT_PT0_S5_ ; -- Begin function _Z33head_segmented_warp_reduce_kernelI12hip_bfloat16hLj64ELj2EENSt9enable_ifIXsr10test_utilsE35device_test_enabled_for_warp_size_vIXT2_EEEvE4typeEPT_PT0_S5_
	.globl	_Z33head_segmented_warp_reduce_kernelI12hip_bfloat16hLj64ELj2EENSt9enable_ifIXsr10test_utilsE35device_test_enabled_for_warp_size_vIXT2_EEEvE4typeEPT_PT0_S5_
	.p2align	8
	.type	_Z33head_segmented_warp_reduce_kernelI12hip_bfloat16hLj64ELj2EENSt9enable_ifIXsr10test_utilsE35device_test_enabled_for_warp_size_vIXT2_EEEvE4typeEPT_PT0_S5_,@function
_Z33head_segmented_warp_reduce_kernelI12hip_bfloat16hLj64ELj2EENSt9enable_ifIXsr10test_utilsE35device_test_enabled_for_warp_size_vIXT2_EEEvE4typeEPT_PT0_S5_: ; @_Z33head_segmented_warp_reduce_kernelI12hip_bfloat16hLj64ELj2EENSt9enable_ifIXsr10test_utilsE35device_test_enabled_for_warp_size_vIXT2_EEEvE4typeEPT_PT0_S5_
; %bb.0:
	s_clause 0x1
	s_load_b32 s2, s[0:1], 0x24
	s_load_b128 s[4:7], s[0:1], 0x0
	v_mbcnt_lo_u32_b32 v5, -1, 0
	s_load_b64 s[0:1], s[0:1], 0x10
	s_delay_alu instid0(VALU_DEP_1) | instskip(SKIP_2) | instid1(SALU_CYCLE_1)
	v_lshl_or_b32 v7, v5, 2, 4
	s_waitcnt lgkmcnt(0)
	s_and_b32 s2, s2, 0xffff
	v_mad_u64_u32 v[2:3], null, s15, s2, v[0:1]
	v_mov_b32_e32 v3, 0
	s_delay_alu instid0(VALU_DEP_1)
	v_lshlrev_b64 v[0:1], 1, v[2:3]
	global_load_u8 v4, v2, s[6:7]
	v_add_co_u32 v2, vcc_lo, s4, v0
	v_add_co_ci_u32_e32 v3, vcc_lo, s5, v1, vcc_lo
	global_load_u16 v2, v[2:3], off
	v_lshlrev_b32_e64 v3, v5, -1
	s_waitcnt vmcnt(1)
	v_cmp_ne_u16_e32 vcc_lo, 0, v4
	v_and_b32_e32 v4, 30, v5
	v_and_b32_e32 v5, 1, v5
	s_lshr_b32 s2, vcc_lo, 1
	s_delay_alu instid0(SALU_CYCLE_1) | instskip(SKIP_1) | instid1(VALU_DEP_1)
	v_and_b32_e32 v6, s2, v3
	s_mov_b32 s2, exec_lo
	v_lshrrev_b32_e32 v6, v4, v6
	s_waitcnt vmcnt(0)
	v_and_b32_e32 v3, 0xffff, v2
	s_delay_alu instid0(VALU_DEP_2) | instskip(SKIP_2) | instid1(VALU_DEP_1)
	v_or_b32_e32 v6, 2, v6
	ds_bpermute_b32 v4, v7, v3
	v_ctz_i32_b32_e32 v6, v6
	v_cmpx_lt_u32_e64 v5, v6
	s_cbranch_execz .LBB156_6
; %bb.1:
	v_lshlrev_b32_e32 v2, 16, v3
	s_waitcnt lgkmcnt(0)
	v_lshlrev_b32_e32 v3, 16, v4
	s_delay_alu instid0(VALU_DEP_1) | instskip(NEXT) | instid1(VALU_DEP_1)
	v_add_f32_e32 v2, v2, v3
	v_and_b32_e32 v3, 0x7f800000, v2
	s_delay_alu instid0(VALU_DEP_1) | instskip(SKIP_1) | instid1(SALU_CYCLE_1)
	v_cmp_ne_u32_e32 vcc_lo, 0x7f800000, v3
                                        ; implicit-def: $vgpr3
	s_and_saveexec_b32 s3, vcc_lo
	s_xor_b32 s3, exec_lo, s3
; %bb.2:
	v_bfe_u32 v3, v2, 16, 1
	s_delay_alu instid0(VALU_DEP_1)
	v_add3_u32 v3, v2, v3, 0x7fff
                                        ; implicit-def: $vgpr2
; %bb.3:
	s_and_not1_saveexec_b32 s3, s3
; %bb.4:
	v_and_b32_e32 v3, 0xffff, v2
	v_or_b32_e32 v4, 0x10000, v2
	s_delay_alu instid0(VALU_DEP_2) | instskip(NEXT) | instid1(VALU_DEP_2)
	v_cmp_eq_u32_e32 vcc_lo, 0, v3
	v_cndmask_b32_e32 v3, v4, v2, vcc_lo
; %bb.5:
	s_or_b32 exec_lo, exec_lo, s3
	s_delay_alu instid0(VALU_DEP_1)
	v_lshrrev_b32_e32 v2, 16, v3
.LBB156_6:
	s_or_b32 exec_lo, exec_lo, s2
	v_add_co_u32 v0, vcc_lo, s0, v0
	v_add_co_ci_u32_e32 v1, vcc_lo, s1, v1, vcc_lo
	global_store_b16 v[0:1], v2, off
	s_nop 0
	s_sendmsg sendmsg(MSG_DEALLOC_VGPRS)
	s_endpgm
	.section	.rodata,"a",@progbits
	.p2align	6, 0x0
	.amdhsa_kernel _Z33head_segmented_warp_reduce_kernelI12hip_bfloat16hLj64ELj2EENSt9enable_ifIXsr10test_utilsE35device_test_enabled_for_warp_size_vIXT2_EEEvE4typeEPT_PT0_S5_
		.amdhsa_group_segment_fixed_size 0
		.amdhsa_private_segment_fixed_size 0
		.amdhsa_kernarg_size 280
		.amdhsa_user_sgpr_count 15
		.amdhsa_user_sgpr_dispatch_ptr 0
		.amdhsa_user_sgpr_queue_ptr 0
		.amdhsa_user_sgpr_kernarg_segment_ptr 1
		.amdhsa_user_sgpr_dispatch_id 0
		.amdhsa_user_sgpr_private_segment_size 0
		.amdhsa_wavefront_size32 1
		.amdhsa_uses_dynamic_stack 0
		.amdhsa_enable_private_segment 0
		.amdhsa_system_sgpr_workgroup_id_x 1
		.amdhsa_system_sgpr_workgroup_id_y 0
		.amdhsa_system_sgpr_workgroup_id_z 0
		.amdhsa_system_sgpr_workgroup_info 0
		.amdhsa_system_vgpr_workitem_id 0
		.amdhsa_next_free_vgpr 8
		.amdhsa_next_free_sgpr 16
		.amdhsa_reserve_vcc 1
		.amdhsa_float_round_mode_32 0
		.amdhsa_float_round_mode_16_64 0
		.amdhsa_float_denorm_mode_32 3
		.amdhsa_float_denorm_mode_16_64 3
		.amdhsa_dx10_clamp 1
		.amdhsa_ieee_mode 1
		.amdhsa_fp16_overflow 0
		.amdhsa_workgroup_processor_mode 1
		.amdhsa_memory_ordered 1
		.amdhsa_forward_progress 0
		.amdhsa_shared_vgpr_count 0
		.amdhsa_exception_fp_ieee_invalid_op 0
		.amdhsa_exception_fp_denorm_src 0
		.amdhsa_exception_fp_ieee_div_zero 0
		.amdhsa_exception_fp_ieee_overflow 0
		.amdhsa_exception_fp_ieee_underflow 0
		.amdhsa_exception_fp_ieee_inexact 0
		.amdhsa_exception_int_div_zero 0
	.end_amdhsa_kernel
	.section	.text._Z33head_segmented_warp_reduce_kernelI12hip_bfloat16hLj64ELj2EENSt9enable_ifIXsr10test_utilsE35device_test_enabled_for_warp_size_vIXT2_EEEvE4typeEPT_PT0_S5_,"axG",@progbits,_Z33head_segmented_warp_reduce_kernelI12hip_bfloat16hLj64ELj2EENSt9enable_ifIXsr10test_utilsE35device_test_enabled_for_warp_size_vIXT2_EEEvE4typeEPT_PT0_S5_,comdat
.Lfunc_end156:
	.size	_Z33head_segmented_warp_reduce_kernelI12hip_bfloat16hLj64ELj2EENSt9enable_ifIXsr10test_utilsE35device_test_enabled_for_warp_size_vIXT2_EEEvE4typeEPT_PT0_S5_, .Lfunc_end156-_Z33head_segmented_warp_reduce_kernelI12hip_bfloat16hLj64ELj2EENSt9enable_ifIXsr10test_utilsE35device_test_enabled_for_warp_size_vIXT2_EEEvE4typeEPT_PT0_S5_
                                        ; -- End function
	.section	.AMDGPU.csdata,"",@progbits
; Kernel info:
; codeLenInByte = 352
; NumSgprs: 18
; NumVgprs: 8
; ScratchSize: 0
; MemoryBound: 0
; FloatMode: 240
; IeeeMode: 1
; LDSByteSize: 0 bytes/workgroup (compile time only)
; SGPRBlocks: 2
; VGPRBlocks: 0
; NumSGPRsForWavesPerEU: 18
; NumVGPRsForWavesPerEU: 8
; Occupancy: 16
; WaveLimiterHint : 0
; COMPUTE_PGM_RSRC2:SCRATCH_EN: 0
; COMPUTE_PGM_RSRC2:USER_SGPR: 15
; COMPUTE_PGM_RSRC2:TRAP_HANDLER: 0
; COMPUTE_PGM_RSRC2:TGID_X_EN: 1
; COMPUTE_PGM_RSRC2:TGID_Y_EN: 0
; COMPUTE_PGM_RSRC2:TGID_Z_EN: 0
; COMPUTE_PGM_RSRC2:TIDIG_COMP_CNT: 0
	.section	.text._Z33head_segmented_warp_reduce_kernelI12hip_bfloat16hLj32ELj1EENSt9enable_ifIXsr10test_utilsE35device_test_enabled_for_warp_size_vIXT2_EEEvE4typeEPT_PT0_S5_,"axG",@progbits,_Z33head_segmented_warp_reduce_kernelI12hip_bfloat16hLj32ELj1EENSt9enable_ifIXsr10test_utilsE35device_test_enabled_for_warp_size_vIXT2_EEEvE4typeEPT_PT0_S5_,comdat
	.protected	_Z33head_segmented_warp_reduce_kernelI12hip_bfloat16hLj32ELj1EENSt9enable_ifIXsr10test_utilsE35device_test_enabled_for_warp_size_vIXT2_EEEvE4typeEPT_PT0_S5_ ; -- Begin function _Z33head_segmented_warp_reduce_kernelI12hip_bfloat16hLj32ELj1EENSt9enable_ifIXsr10test_utilsE35device_test_enabled_for_warp_size_vIXT2_EEEvE4typeEPT_PT0_S5_
	.globl	_Z33head_segmented_warp_reduce_kernelI12hip_bfloat16hLj32ELj1EENSt9enable_ifIXsr10test_utilsE35device_test_enabled_for_warp_size_vIXT2_EEEvE4typeEPT_PT0_S5_
	.p2align	8
	.type	_Z33head_segmented_warp_reduce_kernelI12hip_bfloat16hLj32ELj1EENSt9enable_ifIXsr10test_utilsE35device_test_enabled_for_warp_size_vIXT2_EEEvE4typeEPT_PT0_S5_,@function
_Z33head_segmented_warp_reduce_kernelI12hip_bfloat16hLj32ELj1EENSt9enable_ifIXsr10test_utilsE35device_test_enabled_for_warp_size_vIXT2_EEEvE4typeEPT_PT0_S5_: ; @_Z33head_segmented_warp_reduce_kernelI12hip_bfloat16hLj32ELj1EENSt9enable_ifIXsr10test_utilsE35device_test_enabled_for_warp_size_vIXT2_EEEvE4typeEPT_PT0_S5_
; %bb.0:
	s_clause 0x2
	s_load_b32 s4, s[0:1], 0x24
	s_load_b64 s[2:3], s[0:1], 0x0
	s_load_b64 s[0:1], s[0:1], 0x10
	s_waitcnt lgkmcnt(0)
	s_and_b32 s4, s4, 0xffff
	s_delay_alu instid0(SALU_CYCLE_1) | instskip(SKIP_1) | instid1(VALU_DEP_1)
	v_mad_u64_u32 v[1:2], null, s15, s4, v[0:1]
	v_mov_b32_e32 v2, 0
	v_lshlrev_b64 v[0:1], 1, v[1:2]
	s_delay_alu instid0(VALU_DEP_1) | instskip(NEXT) | instid1(VALU_DEP_2)
	v_add_co_u32 v2, vcc_lo, s2, v0
	v_add_co_ci_u32_e32 v3, vcc_lo, s3, v1, vcc_lo
	v_add_co_u32 v0, vcc_lo, s0, v0
	v_add_co_ci_u32_e32 v1, vcc_lo, s1, v1, vcc_lo
	global_load_u16 v2, v[2:3], off
	s_waitcnt vmcnt(0)
	global_store_b16 v[0:1], v2, off
	s_nop 0
	s_sendmsg sendmsg(MSG_DEALLOC_VGPRS)
	s_endpgm
	.section	.rodata,"a",@progbits
	.p2align	6, 0x0
	.amdhsa_kernel _Z33head_segmented_warp_reduce_kernelI12hip_bfloat16hLj32ELj1EENSt9enable_ifIXsr10test_utilsE35device_test_enabled_for_warp_size_vIXT2_EEEvE4typeEPT_PT0_S5_
		.amdhsa_group_segment_fixed_size 0
		.amdhsa_private_segment_fixed_size 0
		.amdhsa_kernarg_size 280
		.amdhsa_user_sgpr_count 15
		.amdhsa_user_sgpr_dispatch_ptr 0
		.amdhsa_user_sgpr_queue_ptr 0
		.amdhsa_user_sgpr_kernarg_segment_ptr 1
		.amdhsa_user_sgpr_dispatch_id 0
		.amdhsa_user_sgpr_private_segment_size 0
		.amdhsa_wavefront_size32 1
		.amdhsa_uses_dynamic_stack 0
		.amdhsa_enable_private_segment 0
		.amdhsa_system_sgpr_workgroup_id_x 1
		.amdhsa_system_sgpr_workgroup_id_y 0
		.amdhsa_system_sgpr_workgroup_id_z 0
		.amdhsa_system_sgpr_workgroup_info 0
		.amdhsa_system_vgpr_workitem_id 0
		.amdhsa_next_free_vgpr 4
		.amdhsa_next_free_sgpr 16
		.amdhsa_reserve_vcc 1
		.amdhsa_float_round_mode_32 0
		.amdhsa_float_round_mode_16_64 0
		.amdhsa_float_denorm_mode_32 3
		.amdhsa_float_denorm_mode_16_64 3
		.amdhsa_dx10_clamp 1
		.amdhsa_ieee_mode 1
		.amdhsa_fp16_overflow 0
		.amdhsa_workgroup_processor_mode 1
		.amdhsa_memory_ordered 1
		.amdhsa_forward_progress 0
		.amdhsa_shared_vgpr_count 0
		.amdhsa_exception_fp_ieee_invalid_op 0
		.amdhsa_exception_fp_denorm_src 0
		.amdhsa_exception_fp_ieee_div_zero 0
		.amdhsa_exception_fp_ieee_overflow 0
		.amdhsa_exception_fp_ieee_underflow 0
		.amdhsa_exception_fp_ieee_inexact 0
		.amdhsa_exception_int_div_zero 0
	.end_amdhsa_kernel
	.section	.text._Z33head_segmented_warp_reduce_kernelI12hip_bfloat16hLj32ELj1EENSt9enable_ifIXsr10test_utilsE35device_test_enabled_for_warp_size_vIXT2_EEEvE4typeEPT_PT0_S5_,"axG",@progbits,_Z33head_segmented_warp_reduce_kernelI12hip_bfloat16hLj32ELj1EENSt9enable_ifIXsr10test_utilsE35device_test_enabled_for_warp_size_vIXT2_EEEvE4typeEPT_PT0_S5_,comdat
.Lfunc_end157:
	.size	_Z33head_segmented_warp_reduce_kernelI12hip_bfloat16hLj32ELj1EENSt9enable_ifIXsr10test_utilsE35device_test_enabled_for_warp_size_vIXT2_EEEvE4typeEPT_PT0_S5_, .Lfunc_end157-_Z33head_segmented_warp_reduce_kernelI12hip_bfloat16hLj32ELj1EENSt9enable_ifIXsr10test_utilsE35device_test_enabled_for_warp_size_vIXT2_EEEvE4typeEPT_PT0_S5_
                                        ; -- End function
	.section	.AMDGPU.csdata,"",@progbits
; Kernel info:
; codeLenInByte = 124
; NumSgprs: 18
; NumVgprs: 4
; ScratchSize: 0
; MemoryBound: 0
; FloatMode: 240
; IeeeMode: 1
; LDSByteSize: 0 bytes/workgroup (compile time only)
; SGPRBlocks: 2
; VGPRBlocks: 0
; NumSGPRsForWavesPerEU: 18
; NumVGPRsForWavesPerEU: 4
; Occupancy: 16
; WaveLimiterHint : 0
; COMPUTE_PGM_RSRC2:SCRATCH_EN: 0
; COMPUTE_PGM_RSRC2:USER_SGPR: 15
; COMPUTE_PGM_RSRC2:TRAP_HANDLER: 0
; COMPUTE_PGM_RSRC2:TGID_X_EN: 1
; COMPUTE_PGM_RSRC2:TGID_Y_EN: 0
; COMPUTE_PGM_RSRC2:TGID_Z_EN: 0
; COMPUTE_PGM_RSRC2:TIDIG_COMP_CNT: 0
	.section	.text._Z33head_segmented_warp_reduce_kernelI12hip_bfloat16hLj64ELj1EENSt9enable_ifIXsr10test_utilsE35device_test_enabled_for_warp_size_vIXT2_EEEvE4typeEPT_PT0_S5_,"axG",@progbits,_Z33head_segmented_warp_reduce_kernelI12hip_bfloat16hLj64ELj1EENSt9enable_ifIXsr10test_utilsE35device_test_enabled_for_warp_size_vIXT2_EEEvE4typeEPT_PT0_S5_,comdat
	.protected	_Z33head_segmented_warp_reduce_kernelI12hip_bfloat16hLj64ELj1EENSt9enable_ifIXsr10test_utilsE35device_test_enabled_for_warp_size_vIXT2_EEEvE4typeEPT_PT0_S5_ ; -- Begin function _Z33head_segmented_warp_reduce_kernelI12hip_bfloat16hLj64ELj1EENSt9enable_ifIXsr10test_utilsE35device_test_enabled_for_warp_size_vIXT2_EEEvE4typeEPT_PT0_S5_
	.globl	_Z33head_segmented_warp_reduce_kernelI12hip_bfloat16hLj64ELj1EENSt9enable_ifIXsr10test_utilsE35device_test_enabled_for_warp_size_vIXT2_EEEvE4typeEPT_PT0_S5_
	.p2align	8
	.type	_Z33head_segmented_warp_reduce_kernelI12hip_bfloat16hLj64ELj1EENSt9enable_ifIXsr10test_utilsE35device_test_enabled_for_warp_size_vIXT2_EEEvE4typeEPT_PT0_S5_,@function
_Z33head_segmented_warp_reduce_kernelI12hip_bfloat16hLj64ELj1EENSt9enable_ifIXsr10test_utilsE35device_test_enabled_for_warp_size_vIXT2_EEEvE4typeEPT_PT0_S5_: ; @_Z33head_segmented_warp_reduce_kernelI12hip_bfloat16hLj64ELj1EENSt9enable_ifIXsr10test_utilsE35device_test_enabled_for_warp_size_vIXT2_EEEvE4typeEPT_PT0_S5_
; %bb.0:
	s_clause 0x2
	s_load_b32 s4, s[0:1], 0x24
	s_load_b64 s[2:3], s[0:1], 0x0
	s_load_b64 s[0:1], s[0:1], 0x10
	s_waitcnt lgkmcnt(0)
	s_and_b32 s4, s4, 0xffff
	s_delay_alu instid0(SALU_CYCLE_1) | instskip(SKIP_1) | instid1(VALU_DEP_1)
	v_mad_u64_u32 v[1:2], null, s15, s4, v[0:1]
	v_mov_b32_e32 v2, 0
	v_lshlrev_b64 v[0:1], 1, v[1:2]
	s_delay_alu instid0(VALU_DEP_1) | instskip(NEXT) | instid1(VALU_DEP_2)
	v_add_co_u32 v2, vcc_lo, s2, v0
	v_add_co_ci_u32_e32 v3, vcc_lo, s3, v1, vcc_lo
	v_add_co_u32 v0, vcc_lo, s0, v0
	v_add_co_ci_u32_e32 v1, vcc_lo, s1, v1, vcc_lo
	global_load_u16 v2, v[2:3], off
	s_waitcnt vmcnt(0)
	global_store_b16 v[0:1], v2, off
	s_nop 0
	s_sendmsg sendmsg(MSG_DEALLOC_VGPRS)
	s_endpgm
	.section	.rodata,"a",@progbits
	.p2align	6, 0x0
	.amdhsa_kernel _Z33head_segmented_warp_reduce_kernelI12hip_bfloat16hLj64ELj1EENSt9enable_ifIXsr10test_utilsE35device_test_enabled_for_warp_size_vIXT2_EEEvE4typeEPT_PT0_S5_
		.amdhsa_group_segment_fixed_size 0
		.amdhsa_private_segment_fixed_size 0
		.amdhsa_kernarg_size 280
		.amdhsa_user_sgpr_count 15
		.amdhsa_user_sgpr_dispatch_ptr 0
		.amdhsa_user_sgpr_queue_ptr 0
		.amdhsa_user_sgpr_kernarg_segment_ptr 1
		.amdhsa_user_sgpr_dispatch_id 0
		.amdhsa_user_sgpr_private_segment_size 0
		.amdhsa_wavefront_size32 1
		.amdhsa_uses_dynamic_stack 0
		.amdhsa_enable_private_segment 0
		.amdhsa_system_sgpr_workgroup_id_x 1
		.amdhsa_system_sgpr_workgroup_id_y 0
		.amdhsa_system_sgpr_workgroup_id_z 0
		.amdhsa_system_sgpr_workgroup_info 0
		.amdhsa_system_vgpr_workitem_id 0
		.amdhsa_next_free_vgpr 4
		.amdhsa_next_free_sgpr 16
		.amdhsa_reserve_vcc 1
		.amdhsa_float_round_mode_32 0
		.amdhsa_float_round_mode_16_64 0
		.amdhsa_float_denorm_mode_32 3
		.amdhsa_float_denorm_mode_16_64 3
		.amdhsa_dx10_clamp 1
		.amdhsa_ieee_mode 1
		.amdhsa_fp16_overflow 0
		.amdhsa_workgroup_processor_mode 1
		.amdhsa_memory_ordered 1
		.amdhsa_forward_progress 0
		.amdhsa_shared_vgpr_count 0
		.amdhsa_exception_fp_ieee_invalid_op 0
		.amdhsa_exception_fp_denorm_src 0
		.amdhsa_exception_fp_ieee_div_zero 0
		.amdhsa_exception_fp_ieee_overflow 0
		.amdhsa_exception_fp_ieee_underflow 0
		.amdhsa_exception_fp_ieee_inexact 0
		.amdhsa_exception_int_div_zero 0
	.end_amdhsa_kernel
	.section	.text._Z33head_segmented_warp_reduce_kernelI12hip_bfloat16hLj64ELj1EENSt9enable_ifIXsr10test_utilsE35device_test_enabled_for_warp_size_vIXT2_EEEvE4typeEPT_PT0_S5_,"axG",@progbits,_Z33head_segmented_warp_reduce_kernelI12hip_bfloat16hLj64ELj1EENSt9enable_ifIXsr10test_utilsE35device_test_enabled_for_warp_size_vIXT2_EEEvE4typeEPT_PT0_S5_,comdat
.Lfunc_end158:
	.size	_Z33head_segmented_warp_reduce_kernelI12hip_bfloat16hLj64ELj1EENSt9enable_ifIXsr10test_utilsE35device_test_enabled_for_warp_size_vIXT2_EEEvE4typeEPT_PT0_S5_, .Lfunc_end158-_Z33head_segmented_warp_reduce_kernelI12hip_bfloat16hLj64ELj1EENSt9enable_ifIXsr10test_utilsE35device_test_enabled_for_warp_size_vIXT2_EEEvE4typeEPT_PT0_S5_
                                        ; -- End function
	.section	.AMDGPU.csdata,"",@progbits
; Kernel info:
; codeLenInByte = 124
; NumSgprs: 18
; NumVgprs: 4
; ScratchSize: 0
; MemoryBound: 0
; FloatMode: 240
; IeeeMode: 1
; LDSByteSize: 0 bytes/workgroup (compile time only)
; SGPRBlocks: 2
; VGPRBlocks: 0
; NumSGPRsForWavesPerEU: 18
; NumVGPRsForWavesPerEU: 4
; Occupancy: 16
; WaveLimiterHint : 0
; COMPUTE_PGM_RSRC2:SCRATCH_EN: 0
; COMPUTE_PGM_RSRC2:USER_SGPR: 15
; COMPUTE_PGM_RSRC2:TRAP_HANDLER: 0
; COMPUTE_PGM_RSRC2:TGID_X_EN: 1
; COMPUTE_PGM_RSRC2:TGID_Y_EN: 0
; COMPUTE_PGM_RSRC2:TGID_Z_EN: 0
; COMPUTE_PGM_RSRC2:TIDIG_COMP_CNT: 0
	.section	.text._Z33head_segmented_warp_reduce_kernelI6__halfhLj256ELj64EENSt9enable_ifIXntsr10test_utilsE35device_test_enabled_for_warp_size_vIXT2_EEEvE4typeEPT_PT0_S5_,"axG",@progbits,_Z33head_segmented_warp_reduce_kernelI6__halfhLj256ELj64EENSt9enable_ifIXntsr10test_utilsE35device_test_enabled_for_warp_size_vIXT2_EEEvE4typeEPT_PT0_S5_,comdat
	.protected	_Z33head_segmented_warp_reduce_kernelI6__halfhLj256ELj64EENSt9enable_ifIXntsr10test_utilsE35device_test_enabled_for_warp_size_vIXT2_EEEvE4typeEPT_PT0_S5_ ; -- Begin function _Z33head_segmented_warp_reduce_kernelI6__halfhLj256ELj64EENSt9enable_ifIXntsr10test_utilsE35device_test_enabled_for_warp_size_vIXT2_EEEvE4typeEPT_PT0_S5_
	.globl	_Z33head_segmented_warp_reduce_kernelI6__halfhLj256ELj64EENSt9enable_ifIXntsr10test_utilsE35device_test_enabled_for_warp_size_vIXT2_EEEvE4typeEPT_PT0_S5_
	.p2align	8
	.type	_Z33head_segmented_warp_reduce_kernelI6__halfhLj256ELj64EENSt9enable_ifIXntsr10test_utilsE35device_test_enabled_for_warp_size_vIXT2_EEEvE4typeEPT_PT0_S5_,@function
_Z33head_segmented_warp_reduce_kernelI6__halfhLj256ELj64EENSt9enable_ifIXntsr10test_utilsE35device_test_enabled_for_warp_size_vIXT2_EEEvE4typeEPT_PT0_S5_: ; @_Z33head_segmented_warp_reduce_kernelI6__halfhLj256ELj64EENSt9enable_ifIXntsr10test_utilsE35device_test_enabled_for_warp_size_vIXT2_EEEvE4typeEPT_PT0_S5_
; %bb.0:
	s_endpgm
	.section	.rodata,"a",@progbits
	.p2align	6, 0x0
	.amdhsa_kernel _Z33head_segmented_warp_reduce_kernelI6__halfhLj256ELj64EENSt9enable_ifIXntsr10test_utilsE35device_test_enabled_for_warp_size_vIXT2_EEEvE4typeEPT_PT0_S5_
		.amdhsa_group_segment_fixed_size 0
		.amdhsa_private_segment_fixed_size 0
		.amdhsa_kernarg_size 24
		.amdhsa_user_sgpr_count 15
		.amdhsa_user_sgpr_dispatch_ptr 0
		.amdhsa_user_sgpr_queue_ptr 0
		.amdhsa_user_sgpr_kernarg_segment_ptr 1
		.amdhsa_user_sgpr_dispatch_id 0
		.amdhsa_user_sgpr_private_segment_size 0
		.amdhsa_wavefront_size32 1
		.amdhsa_uses_dynamic_stack 0
		.amdhsa_enable_private_segment 0
		.amdhsa_system_sgpr_workgroup_id_x 1
		.amdhsa_system_sgpr_workgroup_id_y 0
		.amdhsa_system_sgpr_workgroup_id_z 0
		.amdhsa_system_sgpr_workgroup_info 0
		.amdhsa_system_vgpr_workitem_id 0
		.amdhsa_next_free_vgpr 1
		.amdhsa_next_free_sgpr 1
		.amdhsa_reserve_vcc 0
		.amdhsa_float_round_mode_32 0
		.amdhsa_float_round_mode_16_64 0
		.amdhsa_float_denorm_mode_32 3
		.amdhsa_float_denorm_mode_16_64 3
		.amdhsa_dx10_clamp 1
		.amdhsa_ieee_mode 1
		.amdhsa_fp16_overflow 0
		.amdhsa_workgroup_processor_mode 1
		.amdhsa_memory_ordered 1
		.amdhsa_forward_progress 0
		.amdhsa_shared_vgpr_count 0
		.amdhsa_exception_fp_ieee_invalid_op 0
		.amdhsa_exception_fp_denorm_src 0
		.amdhsa_exception_fp_ieee_div_zero 0
		.amdhsa_exception_fp_ieee_overflow 0
		.amdhsa_exception_fp_ieee_underflow 0
		.amdhsa_exception_fp_ieee_inexact 0
		.amdhsa_exception_int_div_zero 0
	.end_amdhsa_kernel
	.section	.text._Z33head_segmented_warp_reduce_kernelI6__halfhLj256ELj64EENSt9enable_ifIXntsr10test_utilsE35device_test_enabled_for_warp_size_vIXT2_EEEvE4typeEPT_PT0_S5_,"axG",@progbits,_Z33head_segmented_warp_reduce_kernelI6__halfhLj256ELj64EENSt9enable_ifIXntsr10test_utilsE35device_test_enabled_for_warp_size_vIXT2_EEEvE4typeEPT_PT0_S5_,comdat
.Lfunc_end159:
	.size	_Z33head_segmented_warp_reduce_kernelI6__halfhLj256ELj64EENSt9enable_ifIXntsr10test_utilsE35device_test_enabled_for_warp_size_vIXT2_EEEvE4typeEPT_PT0_S5_, .Lfunc_end159-_Z33head_segmented_warp_reduce_kernelI6__halfhLj256ELj64EENSt9enable_ifIXntsr10test_utilsE35device_test_enabled_for_warp_size_vIXT2_EEEvE4typeEPT_PT0_S5_
                                        ; -- End function
	.section	.AMDGPU.csdata,"",@progbits
; Kernel info:
; codeLenInByte = 4
; NumSgprs: 0
; NumVgprs: 0
; ScratchSize: 0
; MemoryBound: 0
; FloatMode: 240
; IeeeMode: 1
; LDSByteSize: 0 bytes/workgroup (compile time only)
; SGPRBlocks: 0
; VGPRBlocks: 0
; NumSGPRsForWavesPerEU: 1
; NumVGPRsForWavesPerEU: 1
; Occupancy: 16
; WaveLimiterHint : 0
; COMPUTE_PGM_RSRC2:SCRATCH_EN: 0
; COMPUTE_PGM_RSRC2:USER_SGPR: 15
; COMPUTE_PGM_RSRC2:TRAP_HANDLER: 0
; COMPUTE_PGM_RSRC2:TGID_X_EN: 1
; COMPUTE_PGM_RSRC2:TGID_Y_EN: 0
; COMPUTE_PGM_RSRC2:TGID_Z_EN: 0
; COMPUTE_PGM_RSRC2:TIDIG_COMP_CNT: 0
	.section	.text._Z33head_segmented_warp_reduce_kernelI6__halfhLj128ELj32EENSt9enable_ifIXsr10test_utilsE35device_test_enabled_for_warp_size_vIXT2_EEEvE4typeEPT_PT0_S5_,"axG",@progbits,_Z33head_segmented_warp_reduce_kernelI6__halfhLj128ELj32EENSt9enable_ifIXsr10test_utilsE35device_test_enabled_for_warp_size_vIXT2_EEEvE4typeEPT_PT0_S5_,comdat
	.protected	_Z33head_segmented_warp_reduce_kernelI6__halfhLj128ELj32EENSt9enable_ifIXsr10test_utilsE35device_test_enabled_for_warp_size_vIXT2_EEEvE4typeEPT_PT0_S5_ ; -- Begin function _Z33head_segmented_warp_reduce_kernelI6__halfhLj128ELj32EENSt9enable_ifIXsr10test_utilsE35device_test_enabled_for_warp_size_vIXT2_EEEvE4typeEPT_PT0_S5_
	.globl	_Z33head_segmented_warp_reduce_kernelI6__halfhLj128ELj32EENSt9enable_ifIXsr10test_utilsE35device_test_enabled_for_warp_size_vIXT2_EEEvE4typeEPT_PT0_S5_
	.p2align	8
	.type	_Z33head_segmented_warp_reduce_kernelI6__halfhLj128ELj32EENSt9enable_ifIXsr10test_utilsE35device_test_enabled_for_warp_size_vIXT2_EEEvE4typeEPT_PT0_S5_,@function
_Z33head_segmented_warp_reduce_kernelI6__halfhLj128ELj32EENSt9enable_ifIXsr10test_utilsE35device_test_enabled_for_warp_size_vIXT2_EEEvE4typeEPT_PT0_S5_: ; @_Z33head_segmented_warp_reduce_kernelI6__halfhLj128ELj32EENSt9enable_ifIXsr10test_utilsE35device_test_enabled_for_warp_size_vIXT2_EEEvE4typeEPT_PT0_S5_
; %bb.0:
	s_clause 0x1
	s_load_b32 s2, s[0:1], 0x24
	s_load_b128 s[8:11], s[0:1], 0x0
	v_mbcnt_lo_u32_b32 v9, -1, 0
	s_load_b64 s[4:5], s[0:1], 0x10
	s_delay_alu instid0(VALU_DEP_1) | instskip(SKIP_3) | instid1(SALU_CYCLE_1)
	v_add_nc_u32_e32 v8, 2, v9
	v_cmp_gt_u32_e64 s1, 16, v9
	s_waitcnt lgkmcnt(0)
	s_and_b32 s2, s2, 0xffff
	v_mad_u64_u32 v[3:4], null, s15, s2, v[0:1]
	v_mov_b32_e32 v4, 0
	s_delay_alu instid0(VALU_DEP_1) | instskip(NEXT) | instid1(VALU_DEP_1)
	v_lshlrev_b64 v[0:1], 1, v[3:4]
	v_add_co_u32 v4, vcc_lo, s8, v0
	s_delay_alu instid0(VALU_DEP_2) | instskip(SKIP_4) | instid1(VALU_DEP_1)
	v_add_co_ci_u32_e32 v5, vcc_lo, s9, v1, vcc_lo
	v_cmp_ne_u32_e32 vcc_lo, 31, v9
	global_load_u16 v2, v[4:5], off
	global_load_u8 v3, v3, s[10:11]
	v_add_co_ci_u32_e32 v4, vcc_lo, 0, v9, vcc_lo
	v_lshlrev_b32_e32 v4, 2, v4
	s_waitcnt vmcnt(1)
	v_and_b32_e32 v5, 0xffff, v2
	s_waitcnt vmcnt(0)
	v_cmp_ne_u16_e32 vcc_lo, 0, v3
	v_lshlrev_b32_e64 v3, v9, -1
	ds_bpermute_b32 v4, v4, v5
	s_lshr_b32 s0, vcc_lo, 1
	v_cmp_gt_u32_e32 vcc_lo, 30, v9
	v_and_or_b32 v7, v3, s0, 0x80000000
	v_cmp_gt_u32_e64 s0, 24, v9
	v_cndmask_b32_e64 v6, 0, 1, vcc_lo
	s_delay_alu instid0(VALU_DEP_3) | instskip(SKIP_1) | instid1(VALU_DEP_3)
	v_ctz_i32_b32_e32 v10, v7
	v_cmp_gt_u32_e32 vcc_lo, 28, v9
	v_lshlrev_b32_e32 v6, 1, v6
	s_delay_alu instid0(VALU_DEP_1) | instskip(SKIP_3) | instid1(VALU_DEP_2)
	v_add_lshl_u32 v6, v6, v9, 2
	s_waitcnt lgkmcnt(0)
	v_add_f16_e32 v3, v2, v4
	v_add_nc_u32_e32 v4, 1, v9
	v_and_b32_e32 v7, 0xffff, v3
	s_delay_alu instid0(VALU_DEP_2) | instskip(NEXT) | instid1(VALU_DEP_1)
	v_cmp_le_u32_e64 s2, v4, v10
	v_cndmask_b32_e64 v5, v5, v7, s2
	v_cndmask_b32_e64 v7, 0, 1, vcc_lo
	v_cmp_le_u32_e32 vcc_lo, v8, v10
	ds_bpermute_b32 v4, v6, v5
	v_cndmask_b32_e64 v6, v2, v3, s2
	v_lshlrev_b32_e32 v7, 2, v7
	s_or_b32 s3, s2, vcc_lo
	s_delay_alu instid0(VALU_DEP_1) | instskip(SKIP_2) | instid1(VALU_DEP_1)
	v_add_lshl_u32 v7, v7, v9, 2
	s_waitcnt lgkmcnt(0)
	v_add_f16_e32 v4, v4, v6
	v_cndmask_b32_e32 v6, v6, v4, vcc_lo
	v_and_b32_e32 v11, 0xffff, v4
	s_delay_alu instid0(VALU_DEP_1) | instskip(SKIP_4) | instid1(VALU_DEP_3)
	v_dual_cndmask_b32 v8, v5, v11 :: v_dual_add_nc_u32 v11, 4, v9
	ds_bpermute_b32 v5, v7, v8
	v_cndmask_b32_e64 v7, 0, 1, s0
	v_cmp_le_u32_e64 s0, v11, v10
	v_cndmask_b32_e64 v11, 0, 1, s1
	v_lshlrev_b32_e32 v7, 3, v7
	s_delay_alu instid0(VALU_DEP_3) | instskip(NEXT) | instid1(VALU_DEP_2)
	s_or_b32 s3, s0, s3
	v_lshlrev_b32_e32 v11, 4, v11
	s_delay_alu instid0(VALU_DEP_2) | instskip(NEXT) | instid1(VALU_DEP_2)
	v_add_lshl_u32 v7, v7, v9, 2
	v_add_lshl_u32 v11, v11, v9, 2
	s_waitcnt lgkmcnt(0)
	v_add_f16_e32 v5, v5, v6
	s_delay_alu instid0(VALU_DEP_1) | instskip(SKIP_1) | instid1(VALU_DEP_2)
	v_and_b32_e32 v12, 0xffff, v5
	v_cndmask_b32_e64 v6, v6, v5, s0
	v_cndmask_b32_e64 v8, v8, v12, s0
	v_add_nc_u32_e32 v12, 8, v9
	v_add_nc_u32_e32 v9, 16, v9
	ds_bpermute_b32 v7, v7, v8
	v_cmp_le_u32_e64 s1, v12, v10
	v_cmp_le_u32_e64 s2, v9, v10
	s_delay_alu instid0(VALU_DEP_2)
	s_or_b32 s3, s1, s3
	s_delay_alu instid0(VALU_DEP_1) | instid1(SALU_CYCLE_1)
	s_or_b32 s6, s2, s3
	s_waitcnt lgkmcnt(0)
	v_add_f16_e32 v7, v7, v6
	s_delay_alu instid0(VALU_DEP_1) | instskip(NEXT) | instid1(VALU_DEP_1)
	v_and_b32_e32 v13, 0xffff, v7
	v_cndmask_b32_e64 v8, v8, v13, s1
	ds_bpermute_b32 v8, v11, v8
	s_and_saveexec_b32 s3, s6
	s_cbranch_execz .LBB160_2
; %bb.1:
	v_cndmask_b32_e32 v2, v3, v4, vcc_lo
	v_cndmask_b32_e64 v3, v6, v7, s1
	s_delay_alu instid0(VALU_DEP_2) | instskip(SKIP_1) | instid1(VALU_DEP_2)
	v_cndmask_b32_e64 v2, v2, v5, s0
	s_waitcnt lgkmcnt(0)
	v_add_f16_e32 v3, v8, v3
	s_delay_alu instid0(VALU_DEP_2) | instskip(NEXT) | instid1(VALU_DEP_1)
	v_cndmask_b32_e64 v2, v2, v7, s1
	v_cndmask_b32_e64 v2, v2, v3, s2
.LBB160_2:
	s_or_b32 exec_lo, exec_lo, s3
	v_add_co_u32 v0, vcc_lo, s4, v0
	v_add_co_ci_u32_e32 v1, vcc_lo, s5, v1, vcc_lo
	global_store_b16 v[0:1], v2, off
	s_nop 0
	s_sendmsg sendmsg(MSG_DEALLOC_VGPRS)
	s_endpgm
	.section	.rodata,"a",@progbits
	.p2align	6, 0x0
	.amdhsa_kernel _Z33head_segmented_warp_reduce_kernelI6__halfhLj128ELj32EENSt9enable_ifIXsr10test_utilsE35device_test_enabled_for_warp_size_vIXT2_EEEvE4typeEPT_PT0_S5_
		.amdhsa_group_segment_fixed_size 0
		.amdhsa_private_segment_fixed_size 0
		.amdhsa_kernarg_size 280
		.amdhsa_user_sgpr_count 15
		.amdhsa_user_sgpr_dispatch_ptr 0
		.amdhsa_user_sgpr_queue_ptr 0
		.amdhsa_user_sgpr_kernarg_segment_ptr 1
		.amdhsa_user_sgpr_dispatch_id 0
		.amdhsa_user_sgpr_private_segment_size 0
		.amdhsa_wavefront_size32 1
		.amdhsa_uses_dynamic_stack 0
		.amdhsa_enable_private_segment 0
		.amdhsa_system_sgpr_workgroup_id_x 1
		.amdhsa_system_sgpr_workgroup_id_y 0
		.amdhsa_system_sgpr_workgroup_id_z 0
		.amdhsa_system_sgpr_workgroup_info 0
		.amdhsa_system_vgpr_workitem_id 0
		.amdhsa_next_free_vgpr 14
		.amdhsa_next_free_sgpr 16
		.amdhsa_reserve_vcc 1
		.amdhsa_float_round_mode_32 0
		.amdhsa_float_round_mode_16_64 0
		.amdhsa_float_denorm_mode_32 3
		.amdhsa_float_denorm_mode_16_64 3
		.amdhsa_dx10_clamp 1
		.amdhsa_ieee_mode 1
		.amdhsa_fp16_overflow 0
		.amdhsa_workgroup_processor_mode 1
		.amdhsa_memory_ordered 1
		.amdhsa_forward_progress 0
		.amdhsa_shared_vgpr_count 0
		.amdhsa_exception_fp_ieee_invalid_op 0
		.amdhsa_exception_fp_denorm_src 0
		.amdhsa_exception_fp_ieee_div_zero 0
		.amdhsa_exception_fp_ieee_overflow 0
		.amdhsa_exception_fp_ieee_underflow 0
		.amdhsa_exception_fp_ieee_inexact 0
		.amdhsa_exception_int_div_zero 0
	.end_amdhsa_kernel
	.section	.text._Z33head_segmented_warp_reduce_kernelI6__halfhLj128ELj32EENSt9enable_ifIXsr10test_utilsE35device_test_enabled_for_warp_size_vIXT2_EEEvE4typeEPT_PT0_S5_,"axG",@progbits,_Z33head_segmented_warp_reduce_kernelI6__halfhLj128ELj32EENSt9enable_ifIXsr10test_utilsE35device_test_enabled_for_warp_size_vIXT2_EEEvE4typeEPT_PT0_S5_,comdat
.Lfunc_end160:
	.size	_Z33head_segmented_warp_reduce_kernelI6__halfhLj128ELj32EENSt9enable_ifIXsr10test_utilsE35device_test_enabled_for_warp_size_vIXT2_EEEvE4typeEPT_PT0_S5_, .Lfunc_end160-_Z33head_segmented_warp_reduce_kernelI6__halfhLj128ELj32EENSt9enable_ifIXsr10test_utilsE35device_test_enabled_for_warp_size_vIXT2_EEEvE4typeEPT_PT0_S5_
                                        ; -- End function
	.section	.AMDGPU.csdata,"",@progbits
; Kernel info:
; codeLenInByte = 636
; NumSgprs: 18
; NumVgprs: 14
; ScratchSize: 0
; MemoryBound: 0
; FloatMode: 240
; IeeeMode: 1
; LDSByteSize: 0 bytes/workgroup (compile time only)
; SGPRBlocks: 2
; VGPRBlocks: 1
; NumSGPRsForWavesPerEU: 18
; NumVGPRsForWavesPerEU: 14
; Occupancy: 16
; WaveLimiterHint : 0
; COMPUTE_PGM_RSRC2:SCRATCH_EN: 0
; COMPUTE_PGM_RSRC2:USER_SGPR: 15
; COMPUTE_PGM_RSRC2:TRAP_HANDLER: 0
; COMPUTE_PGM_RSRC2:TGID_X_EN: 1
; COMPUTE_PGM_RSRC2:TGID_Y_EN: 0
; COMPUTE_PGM_RSRC2:TGID_Z_EN: 0
; COMPUTE_PGM_RSRC2:TIDIG_COMP_CNT: 0
	.section	.text._Z33head_segmented_warp_reduce_kernelI6__halfhLj64ELj16EENSt9enable_ifIXsr10test_utilsE35device_test_enabled_for_warp_size_vIXT2_EEEvE4typeEPT_PT0_S5_,"axG",@progbits,_Z33head_segmented_warp_reduce_kernelI6__halfhLj64ELj16EENSt9enable_ifIXsr10test_utilsE35device_test_enabled_for_warp_size_vIXT2_EEEvE4typeEPT_PT0_S5_,comdat
	.protected	_Z33head_segmented_warp_reduce_kernelI6__halfhLj64ELj16EENSt9enable_ifIXsr10test_utilsE35device_test_enabled_for_warp_size_vIXT2_EEEvE4typeEPT_PT0_S5_ ; -- Begin function _Z33head_segmented_warp_reduce_kernelI6__halfhLj64ELj16EENSt9enable_ifIXsr10test_utilsE35device_test_enabled_for_warp_size_vIXT2_EEEvE4typeEPT_PT0_S5_
	.globl	_Z33head_segmented_warp_reduce_kernelI6__halfhLj64ELj16EENSt9enable_ifIXsr10test_utilsE35device_test_enabled_for_warp_size_vIXT2_EEEvE4typeEPT_PT0_S5_
	.p2align	8
	.type	_Z33head_segmented_warp_reduce_kernelI6__halfhLj64ELj16EENSt9enable_ifIXsr10test_utilsE35device_test_enabled_for_warp_size_vIXT2_EEEvE4typeEPT_PT0_S5_,@function
_Z33head_segmented_warp_reduce_kernelI6__halfhLj64ELj16EENSt9enable_ifIXsr10test_utilsE35device_test_enabled_for_warp_size_vIXT2_EEEvE4typeEPT_PT0_S5_: ; @_Z33head_segmented_warp_reduce_kernelI6__halfhLj64ELj16EENSt9enable_ifIXsr10test_utilsE35device_test_enabled_for_warp_size_vIXT2_EEEvE4typeEPT_PT0_S5_
; %bb.0:
	s_clause 0x1
	s_load_b32 s2, s[0:1], 0x24
	s_load_b128 s[4:7], s[0:1], 0x0
	v_mbcnt_lo_u32_b32 v9, -1, 0
	s_delay_alu instid0(VALU_DEP_1) | instskip(SKIP_2) | instid1(SALU_CYCLE_1)
	v_and_b32_e32 v7, 16, v9
	s_waitcnt lgkmcnt(0)
	s_and_b32 s2, s2, 0xffff
	v_mad_u64_u32 v[3:4], null, s15, s2, v[0:1]
	v_mov_b32_e32 v4, 0
	s_load_b64 s[2:3], s[0:1], 0x10
	s_delay_alu instid0(VALU_DEP_1) | instskip(NEXT) | instid1(VALU_DEP_1)
	v_lshlrev_b64 v[0:1], 1, v[3:4]
	v_add_co_u32 v4, vcc_lo, s4, v0
	s_delay_alu instid0(VALU_DEP_2) | instskip(SKIP_3) | instid1(VALU_DEP_1)
	v_add_co_ci_u32_e32 v5, vcc_lo, s5, v1, vcc_lo
	global_load_u16 v2, v[4:5], off
	global_load_u8 v4, v3, s[6:7]
	v_and_b32_e32 v3, 15, v9
	v_cmp_ne_u32_e32 vcc_lo, 15, v3
	v_add_nc_u32_e32 v11, 2, v3
	v_add_co_ci_u32_e32 v5, vcc_lo, 0, v9, vcc_lo
	s_delay_alu instid0(VALU_DEP_1)
	v_lshlrev_b32_e32 v5, 2, v5
	s_waitcnt vmcnt(0)
	v_cmp_ne_u16_e32 vcc_lo, 0, v4
	v_lshlrev_b32_e64 v4, v9, -1
	s_lshr_b32 s0, vcc_lo, 1
	v_cmp_gt_u32_e32 vcc_lo, 14, v3
	s_delay_alu instid0(VALU_DEP_2) | instskip(SKIP_1) | instid1(VALU_DEP_2)
	v_and_b32_e32 v4, s0, v4
	v_cmp_gt_u32_e64 s0, 8, v3
	v_lshrrev_b32_e32 v4, v7, v4
	v_cndmask_b32_e64 v7, 0, 1, vcc_lo
	v_cmp_gt_u32_e32 vcc_lo, 12, v3
	s_delay_alu instid0(VALU_DEP_3) | instskip(NEXT) | instid1(VALU_DEP_3)
	v_or_b32_e32 v4, 0x8000, v4
	v_lshlrev_b32_e32 v7, 1, v7
	v_cndmask_b32_e64 v10, 0, 1, vcc_lo
	s_delay_alu instid0(VALU_DEP_3) | instskip(NEXT) | instid1(VALU_DEP_3)
	v_ctz_i32_b32_e32 v4, v4
	v_add_lshl_u32 v7, v7, v9, 2
	s_delay_alu instid0(VALU_DEP_3) | instskip(NEXT) | instid1(VALU_DEP_3)
	v_lshlrev_b32_e32 v10, 2, v10
	v_cmp_gt_u32_e32 vcc_lo, v11, v4
	v_and_b32_e32 v6, 0xffff, v2
	v_cmp_lt_u32_e64 s1, v3, v4
	s_delay_alu instid0(VALU_DEP_4) | instskip(SKIP_3) | instid1(VALU_DEP_1)
	v_add_lshl_u32 v10, v10, v9, 2
	ds_bpermute_b32 v5, v5, v6
	s_waitcnt lgkmcnt(0)
	v_add_f16_e32 v5, v2, v5
	v_and_b32_e32 v8, 0xffff, v5
	s_delay_alu instid0(VALU_DEP_1) | instskip(SKIP_3) | instid1(VALU_DEP_1)
	v_cndmask_b32_e64 v8, v6, v8, s1
	ds_bpermute_b32 v6, v7, v8
	v_cndmask_b32_e64 v7, v2, v5, s1
	s_waitcnt lgkmcnt(0)
	v_add_f16_e32 v6, v6, v7
	s_delay_alu instid0(VALU_DEP_1) | instskip(NEXT) | instid1(VALU_DEP_1)
	v_dual_cndmask_b32 v7, v6, v7 :: v_dual_and_b32 v12, 0xffff, v6
	v_dual_cndmask_b32 v11, v12, v8 :: v_dual_add_nc_u32 v12, 4, v3
	ds_bpermute_b32 v8, v10, v11
	v_cndmask_b32_e64 v10, 0, 1, s0
	v_cmp_gt_u32_e64 s0, v12, v4
	s_delay_alu instid0(VALU_DEP_2) | instskip(NEXT) | instid1(VALU_DEP_1)
	v_lshlrev_b32_e32 v10, 3, v10
	v_add_lshl_u32 v9, v10, v9, 2
	s_waitcnt lgkmcnt(0)
	v_add_f16_e32 v8, v8, v7
	s_delay_alu instid0(VALU_DEP_1) | instskip(NEXT) | instid1(VALU_DEP_1)
	v_and_b32_e32 v13, 0xffff, v8
	v_cndmask_b32_e64 v11, v13, v11, s0
	ds_bpermute_b32 v9, v9, v11
	s_and_saveexec_b32 s4, s1
	s_cbranch_execz .LBB161_2
; %bb.1:
	v_dual_cndmask_b32 v2, v6, v5 :: v_dual_add_nc_u32 v3, 8, v3
	v_cndmask_b32_e64 v5, v8, v7, s0
	s_delay_alu instid0(VALU_DEP_2) | instskip(NEXT) | instid1(VALU_DEP_3)
	v_cndmask_b32_e64 v2, v8, v2, s0
	v_cmp_gt_u32_e32 vcc_lo, v3, v4
	s_waitcnt lgkmcnt(0)
	s_delay_alu instid0(VALU_DEP_3) | instskip(NEXT) | instid1(VALU_DEP_1)
	v_add_f16_e32 v5, v9, v5
	v_cndmask_b32_e32 v2, v5, v2, vcc_lo
.LBB161_2:
	s_or_b32 exec_lo, exec_lo, s4
	v_add_co_u32 v0, vcc_lo, s2, v0
	v_add_co_ci_u32_e32 v1, vcc_lo, s3, v1, vcc_lo
	global_store_b16 v[0:1], v2, off
	s_nop 0
	s_sendmsg sendmsg(MSG_DEALLOC_VGPRS)
	s_endpgm
	.section	.rodata,"a",@progbits
	.p2align	6, 0x0
	.amdhsa_kernel _Z33head_segmented_warp_reduce_kernelI6__halfhLj64ELj16EENSt9enable_ifIXsr10test_utilsE35device_test_enabled_for_warp_size_vIXT2_EEEvE4typeEPT_PT0_S5_
		.amdhsa_group_segment_fixed_size 0
		.amdhsa_private_segment_fixed_size 0
		.amdhsa_kernarg_size 280
		.amdhsa_user_sgpr_count 15
		.amdhsa_user_sgpr_dispatch_ptr 0
		.amdhsa_user_sgpr_queue_ptr 0
		.amdhsa_user_sgpr_kernarg_segment_ptr 1
		.amdhsa_user_sgpr_dispatch_id 0
		.amdhsa_user_sgpr_private_segment_size 0
		.amdhsa_wavefront_size32 1
		.amdhsa_uses_dynamic_stack 0
		.amdhsa_enable_private_segment 0
		.amdhsa_system_sgpr_workgroup_id_x 1
		.amdhsa_system_sgpr_workgroup_id_y 0
		.amdhsa_system_sgpr_workgroup_id_z 0
		.amdhsa_system_sgpr_workgroup_info 0
		.amdhsa_system_vgpr_workitem_id 0
		.amdhsa_next_free_vgpr 14
		.amdhsa_next_free_sgpr 16
		.amdhsa_reserve_vcc 1
		.amdhsa_float_round_mode_32 0
		.amdhsa_float_round_mode_16_64 0
		.amdhsa_float_denorm_mode_32 3
		.amdhsa_float_denorm_mode_16_64 3
		.amdhsa_dx10_clamp 1
		.amdhsa_ieee_mode 1
		.amdhsa_fp16_overflow 0
		.amdhsa_workgroup_processor_mode 1
		.amdhsa_memory_ordered 1
		.amdhsa_forward_progress 0
		.amdhsa_shared_vgpr_count 0
		.amdhsa_exception_fp_ieee_invalid_op 0
		.amdhsa_exception_fp_denorm_src 0
		.amdhsa_exception_fp_ieee_div_zero 0
		.amdhsa_exception_fp_ieee_overflow 0
		.amdhsa_exception_fp_ieee_underflow 0
		.amdhsa_exception_fp_ieee_inexact 0
		.amdhsa_exception_int_div_zero 0
	.end_amdhsa_kernel
	.section	.text._Z33head_segmented_warp_reduce_kernelI6__halfhLj64ELj16EENSt9enable_ifIXsr10test_utilsE35device_test_enabled_for_warp_size_vIXT2_EEEvE4typeEPT_PT0_S5_,"axG",@progbits,_Z33head_segmented_warp_reduce_kernelI6__halfhLj64ELj16EENSt9enable_ifIXsr10test_utilsE35device_test_enabled_for_warp_size_vIXT2_EEEvE4typeEPT_PT0_S5_,comdat
.Lfunc_end161:
	.size	_Z33head_segmented_warp_reduce_kernelI6__halfhLj64ELj16EENSt9enable_ifIXsr10test_utilsE35device_test_enabled_for_warp_size_vIXT2_EEEvE4typeEPT_PT0_S5_, .Lfunc_end161-_Z33head_segmented_warp_reduce_kernelI6__halfhLj64ELj16EENSt9enable_ifIXsr10test_utilsE35device_test_enabled_for_warp_size_vIXT2_EEEvE4typeEPT_PT0_S5_
                                        ; -- End function
	.section	.AMDGPU.csdata,"",@progbits
; Kernel info:
; codeLenInByte = 524
; NumSgprs: 18
; NumVgprs: 14
; ScratchSize: 0
; MemoryBound: 0
; FloatMode: 240
; IeeeMode: 1
; LDSByteSize: 0 bytes/workgroup (compile time only)
; SGPRBlocks: 2
; VGPRBlocks: 1
; NumSGPRsForWavesPerEU: 18
; NumVGPRsForWavesPerEU: 14
; Occupancy: 16
; WaveLimiterHint : 0
; COMPUTE_PGM_RSRC2:SCRATCH_EN: 0
; COMPUTE_PGM_RSRC2:USER_SGPR: 15
; COMPUTE_PGM_RSRC2:TRAP_HANDLER: 0
; COMPUTE_PGM_RSRC2:TGID_X_EN: 1
; COMPUTE_PGM_RSRC2:TGID_Y_EN: 0
; COMPUTE_PGM_RSRC2:TGID_Z_EN: 0
; COMPUTE_PGM_RSRC2:TIDIG_COMP_CNT: 0
	.section	.text._Z33head_segmented_warp_reduce_kernelI6__halfhLj32ELj8EENSt9enable_ifIXsr10test_utilsE35device_test_enabled_for_warp_size_vIXT2_EEEvE4typeEPT_PT0_S5_,"axG",@progbits,_Z33head_segmented_warp_reduce_kernelI6__halfhLj32ELj8EENSt9enable_ifIXsr10test_utilsE35device_test_enabled_for_warp_size_vIXT2_EEEvE4typeEPT_PT0_S5_,comdat
	.protected	_Z33head_segmented_warp_reduce_kernelI6__halfhLj32ELj8EENSt9enable_ifIXsr10test_utilsE35device_test_enabled_for_warp_size_vIXT2_EEEvE4typeEPT_PT0_S5_ ; -- Begin function _Z33head_segmented_warp_reduce_kernelI6__halfhLj32ELj8EENSt9enable_ifIXsr10test_utilsE35device_test_enabled_for_warp_size_vIXT2_EEEvE4typeEPT_PT0_S5_
	.globl	_Z33head_segmented_warp_reduce_kernelI6__halfhLj32ELj8EENSt9enable_ifIXsr10test_utilsE35device_test_enabled_for_warp_size_vIXT2_EEEvE4typeEPT_PT0_S5_
	.p2align	8
	.type	_Z33head_segmented_warp_reduce_kernelI6__halfhLj32ELj8EENSt9enable_ifIXsr10test_utilsE35device_test_enabled_for_warp_size_vIXT2_EEEvE4typeEPT_PT0_S5_,@function
_Z33head_segmented_warp_reduce_kernelI6__halfhLj32ELj8EENSt9enable_ifIXsr10test_utilsE35device_test_enabled_for_warp_size_vIXT2_EEEvE4typeEPT_PT0_S5_: ; @_Z33head_segmented_warp_reduce_kernelI6__halfhLj32ELj8EENSt9enable_ifIXsr10test_utilsE35device_test_enabled_for_warp_size_vIXT2_EEEvE4typeEPT_PT0_S5_
; %bb.0:
	s_clause 0x1
	s_load_b32 s2, s[0:1], 0x24
	s_load_b128 s[4:7], s[0:1], 0x0
	s_waitcnt lgkmcnt(0)
	s_and_b32 s2, s2, 0xffff
	s_delay_alu instid0(SALU_CYCLE_1) | instskip(SKIP_2) | instid1(VALU_DEP_1)
	v_mad_u64_u32 v[1:2], null, s15, s2, v[0:1]
	v_mov_b32_e32 v2, 0
	s_load_b64 s[2:3], s[0:1], 0x10
	v_lshlrev_b64 v[2:3], 1, v[1:2]
	s_delay_alu instid0(VALU_DEP_1) | instskip(NEXT) | instid1(VALU_DEP_2)
	v_add_co_u32 v4, vcc_lo, s4, v2
	v_add_co_ci_u32_e32 v5, vcc_lo, s5, v3, vcc_lo
	global_load_u16 v0, v[4:5], off
	global_load_u8 v1, v1, s[6:7]
	v_mbcnt_lo_u32_b32 v4, -1, 0
	s_delay_alu instid0(VALU_DEP_1) | instskip(SKIP_1) | instid1(VALU_DEP_2)
	v_and_b32_e32 v5, 7, v4
	v_and_b32_e32 v8, 24, v4
	v_cmp_ne_u32_e32 vcc_lo, 7, v5
	v_add_nc_u32_e32 v11, 2, v5
	v_add_co_ci_u32_e32 v6, vcc_lo, 0, v4, vcc_lo
	s_waitcnt vmcnt(0)
	v_cmp_ne_u16_e32 vcc_lo, 0, v1
	v_lshlrev_b32_e64 v1, v4, -1
	s_lshr_b32 s0, vcc_lo, 1
	v_cmp_gt_u32_e32 vcc_lo, 6, v5
	s_delay_alu instid0(VALU_DEP_2) | instskip(SKIP_1) | instid1(VALU_DEP_2)
	v_and_b32_e32 v1, s0, v1
	v_cmp_gt_u32_e64 s0, 4, v5
	v_lshrrev_b32_e32 v1, v8, v1
	v_cndmask_b32_e64 v8, 0, 1, vcc_lo
	s_delay_alu instid0(VALU_DEP_3) | instskip(NEXT) | instid1(VALU_DEP_3)
	v_cndmask_b32_e64 v10, 0, 1, s0
	v_or_b32_e32 v1, 0x80, v1
	s_delay_alu instid0(VALU_DEP_3) | instskip(NEXT) | instid1(VALU_DEP_3)
	v_lshlrev_b32_e32 v8, 1, v8
	v_lshlrev_b32_e32 v10, 2, v10
	s_delay_alu instid0(VALU_DEP_3) | instskip(NEXT) | instid1(VALU_DEP_3)
	v_ctz_i32_b32_e32 v1, v1
	v_add_lshl_u32 v8, v8, v4, 2
	s_delay_alu instid0(VALU_DEP_3) | instskip(NEXT) | instid1(VALU_DEP_3)
	v_add_lshl_u32 v4, v10, v4, 2
	v_cmp_lt_u32_e32 vcc_lo, v5, v1
	v_and_b32_e32 v7, 0xffff, v0
	v_lshlrev_b32_e32 v6, 2, v6
	v_cmp_gt_u32_e64 s0, v11, v1
	v_add_nc_u32_e32 v5, 4, v5
	ds_bpermute_b32 v6, v6, v7
	s_waitcnt lgkmcnt(0)
	v_add_f16_e32 v6, v0, v6
	s_delay_alu instid0(VALU_DEP_1) | instskip(NEXT) | instid1(VALU_DEP_1)
	v_and_b32_e32 v9, 0xffff, v6
	v_cndmask_b32_e32 v7, v7, v9, vcc_lo
	v_cndmask_b32_e32 v9, v0, v6, vcc_lo
	ds_bpermute_b32 v8, v8, v7
	s_waitcnt lgkmcnt(0)
	v_add_f16_e32 v8, v8, v9
	s_delay_alu instid0(VALU_DEP_1) | instskip(SKIP_1) | instid1(VALU_DEP_2)
	v_and_b32_e32 v12, 0xffff, v8
	v_cndmask_b32_e64 v6, v8, v6, s0
	v_cndmask_b32_e64 v7, v12, v7, s0
	s_delay_alu instid0(VALU_DEP_2) | instskip(SKIP_4) | instid1(VALU_DEP_1)
	v_cndmask_b32_e32 v0, v0, v6, vcc_lo
	v_cmp_gt_u32_e32 vcc_lo, v5, v1
	ds_bpermute_b32 v4, v4, v7
	v_cndmask_b32_e64 v7, v8, v9, s0
	s_waitcnt lgkmcnt(0)
	v_add_f16_e32 v4, v4, v7
	s_delay_alu instid0(VALU_DEP_1)
	v_cndmask_b32_e32 v4, v4, v0, vcc_lo
	v_add_co_u32 v0, vcc_lo, s2, v2
	v_add_co_ci_u32_e32 v1, vcc_lo, s3, v3, vcc_lo
	global_store_b16 v[0:1], v4, off
	s_nop 0
	s_sendmsg sendmsg(MSG_DEALLOC_VGPRS)
	s_endpgm
	.section	.rodata,"a",@progbits
	.p2align	6, 0x0
	.amdhsa_kernel _Z33head_segmented_warp_reduce_kernelI6__halfhLj32ELj8EENSt9enable_ifIXsr10test_utilsE35device_test_enabled_for_warp_size_vIXT2_EEEvE4typeEPT_PT0_S5_
		.amdhsa_group_segment_fixed_size 0
		.amdhsa_private_segment_fixed_size 0
		.amdhsa_kernarg_size 280
		.amdhsa_user_sgpr_count 15
		.amdhsa_user_sgpr_dispatch_ptr 0
		.amdhsa_user_sgpr_queue_ptr 0
		.amdhsa_user_sgpr_kernarg_segment_ptr 1
		.amdhsa_user_sgpr_dispatch_id 0
		.amdhsa_user_sgpr_private_segment_size 0
		.amdhsa_wavefront_size32 1
		.amdhsa_uses_dynamic_stack 0
		.amdhsa_enable_private_segment 0
		.amdhsa_system_sgpr_workgroup_id_x 1
		.amdhsa_system_sgpr_workgroup_id_y 0
		.amdhsa_system_sgpr_workgroup_id_z 0
		.amdhsa_system_sgpr_workgroup_info 0
		.amdhsa_system_vgpr_workitem_id 0
		.amdhsa_next_free_vgpr 13
		.amdhsa_next_free_sgpr 16
		.amdhsa_reserve_vcc 1
		.amdhsa_float_round_mode_32 0
		.amdhsa_float_round_mode_16_64 0
		.amdhsa_float_denorm_mode_32 3
		.amdhsa_float_denorm_mode_16_64 3
		.amdhsa_dx10_clamp 1
		.amdhsa_ieee_mode 1
		.amdhsa_fp16_overflow 0
		.amdhsa_workgroup_processor_mode 1
		.amdhsa_memory_ordered 1
		.amdhsa_forward_progress 0
		.amdhsa_shared_vgpr_count 0
		.amdhsa_exception_fp_ieee_invalid_op 0
		.amdhsa_exception_fp_denorm_src 0
		.amdhsa_exception_fp_ieee_div_zero 0
		.amdhsa_exception_fp_ieee_overflow 0
		.amdhsa_exception_fp_ieee_underflow 0
		.amdhsa_exception_fp_ieee_inexact 0
		.amdhsa_exception_int_div_zero 0
	.end_amdhsa_kernel
	.section	.text._Z33head_segmented_warp_reduce_kernelI6__halfhLj32ELj8EENSt9enable_ifIXsr10test_utilsE35device_test_enabled_for_warp_size_vIXT2_EEEvE4typeEPT_PT0_S5_,"axG",@progbits,_Z33head_segmented_warp_reduce_kernelI6__halfhLj32ELj8EENSt9enable_ifIXsr10test_utilsE35device_test_enabled_for_warp_size_vIXT2_EEEvE4typeEPT_PT0_S5_,comdat
.Lfunc_end162:
	.size	_Z33head_segmented_warp_reduce_kernelI6__halfhLj32ELj8EENSt9enable_ifIXsr10test_utilsE35device_test_enabled_for_warp_size_vIXT2_EEEvE4typeEPT_PT0_S5_, .Lfunc_end162-_Z33head_segmented_warp_reduce_kernelI6__halfhLj32ELj8EENSt9enable_ifIXsr10test_utilsE35device_test_enabled_for_warp_size_vIXT2_EEEvE4typeEPT_PT0_S5_
                                        ; -- End function
	.section	.AMDGPU.csdata,"",@progbits
; Kernel info:
; codeLenInByte = 424
; NumSgprs: 18
; NumVgprs: 13
; ScratchSize: 0
; MemoryBound: 0
; FloatMode: 240
; IeeeMode: 1
; LDSByteSize: 0 bytes/workgroup (compile time only)
; SGPRBlocks: 2
; VGPRBlocks: 1
; NumSGPRsForWavesPerEU: 18
; NumVGPRsForWavesPerEU: 13
; Occupancy: 16
; WaveLimiterHint : 0
; COMPUTE_PGM_RSRC2:SCRATCH_EN: 0
; COMPUTE_PGM_RSRC2:USER_SGPR: 15
; COMPUTE_PGM_RSRC2:TRAP_HANDLER: 0
; COMPUTE_PGM_RSRC2:TGID_X_EN: 1
; COMPUTE_PGM_RSRC2:TGID_Y_EN: 0
; COMPUTE_PGM_RSRC2:TGID_Z_EN: 0
; COMPUTE_PGM_RSRC2:TIDIG_COMP_CNT: 0
	.section	.text._Z33head_segmented_warp_reduce_kernelI6__halfhLj64ELj8EENSt9enable_ifIXsr10test_utilsE35device_test_enabled_for_warp_size_vIXT2_EEEvE4typeEPT_PT0_S5_,"axG",@progbits,_Z33head_segmented_warp_reduce_kernelI6__halfhLj64ELj8EENSt9enable_ifIXsr10test_utilsE35device_test_enabled_for_warp_size_vIXT2_EEEvE4typeEPT_PT0_S5_,comdat
	.protected	_Z33head_segmented_warp_reduce_kernelI6__halfhLj64ELj8EENSt9enable_ifIXsr10test_utilsE35device_test_enabled_for_warp_size_vIXT2_EEEvE4typeEPT_PT0_S5_ ; -- Begin function _Z33head_segmented_warp_reduce_kernelI6__halfhLj64ELj8EENSt9enable_ifIXsr10test_utilsE35device_test_enabled_for_warp_size_vIXT2_EEEvE4typeEPT_PT0_S5_
	.globl	_Z33head_segmented_warp_reduce_kernelI6__halfhLj64ELj8EENSt9enable_ifIXsr10test_utilsE35device_test_enabled_for_warp_size_vIXT2_EEEvE4typeEPT_PT0_S5_
	.p2align	8
	.type	_Z33head_segmented_warp_reduce_kernelI6__halfhLj64ELj8EENSt9enable_ifIXsr10test_utilsE35device_test_enabled_for_warp_size_vIXT2_EEEvE4typeEPT_PT0_S5_,@function
_Z33head_segmented_warp_reduce_kernelI6__halfhLj64ELj8EENSt9enable_ifIXsr10test_utilsE35device_test_enabled_for_warp_size_vIXT2_EEEvE4typeEPT_PT0_S5_: ; @_Z33head_segmented_warp_reduce_kernelI6__halfhLj64ELj8EENSt9enable_ifIXsr10test_utilsE35device_test_enabled_for_warp_size_vIXT2_EEEvE4typeEPT_PT0_S5_
; %bb.0:
	s_clause 0x1
	s_load_b32 s2, s[0:1], 0x24
	s_load_b128 s[4:7], s[0:1], 0x0
	s_waitcnt lgkmcnt(0)
	s_and_b32 s2, s2, 0xffff
	s_delay_alu instid0(SALU_CYCLE_1) | instskip(SKIP_2) | instid1(VALU_DEP_1)
	v_mad_u64_u32 v[1:2], null, s15, s2, v[0:1]
	v_mov_b32_e32 v2, 0
	s_load_b64 s[2:3], s[0:1], 0x10
	v_lshlrev_b64 v[2:3], 1, v[1:2]
	s_delay_alu instid0(VALU_DEP_1) | instskip(NEXT) | instid1(VALU_DEP_2)
	v_add_co_u32 v4, vcc_lo, s4, v2
	v_add_co_ci_u32_e32 v5, vcc_lo, s5, v3, vcc_lo
	global_load_u16 v0, v[4:5], off
	global_load_u8 v1, v1, s[6:7]
	v_mbcnt_lo_u32_b32 v4, -1, 0
	s_delay_alu instid0(VALU_DEP_1) | instskip(SKIP_1) | instid1(VALU_DEP_2)
	v_and_b32_e32 v5, 7, v4
	v_and_b32_e32 v8, 24, v4
	v_cmp_ne_u32_e32 vcc_lo, 7, v5
	v_add_nc_u32_e32 v11, 2, v5
	v_add_co_ci_u32_e32 v6, vcc_lo, 0, v4, vcc_lo
	s_waitcnt vmcnt(0)
	v_cmp_ne_u16_e32 vcc_lo, 0, v1
	v_lshlrev_b32_e64 v1, v4, -1
	s_lshr_b32 s0, vcc_lo, 1
	v_cmp_gt_u32_e32 vcc_lo, 6, v5
	s_delay_alu instid0(VALU_DEP_2) | instskip(SKIP_1) | instid1(VALU_DEP_2)
	v_and_b32_e32 v1, s0, v1
	v_cmp_gt_u32_e64 s0, 4, v5
	v_lshrrev_b32_e32 v1, v8, v1
	v_cndmask_b32_e64 v8, 0, 1, vcc_lo
	s_delay_alu instid0(VALU_DEP_3) | instskip(NEXT) | instid1(VALU_DEP_3)
	v_cndmask_b32_e64 v10, 0, 1, s0
	v_or_b32_e32 v1, 0x80, v1
	s_delay_alu instid0(VALU_DEP_3) | instskip(NEXT) | instid1(VALU_DEP_3)
	v_lshlrev_b32_e32 v8, 1, v8
	v_lshlrev_b32_e32 v10, 2, v10
	s_delay_alu instid0(VALU_DEP_3) | instskip(NEXT) | instid1(VALU_DEP_3)
	v_ctz_i32_b32_e32 v1, v1
	v_add_lshl_u32 v8, v8, v4, 2
	s_delay_alu instid0(VALU_DEP_3) | instskip(NEXT) | instid1(VALU_DEP_3)
	v_add_lshl_u32 v4, v10, v4, 2
	v_cmp_lt_u32_e32 vcc_lo, v5, v1
	v_and_b32_e32 v7, 0xffff, v0
	v_lshlrev_b32_e32 v6, 2, v6
	v_cmp_gt_u32_e64 s0, v11, v1
	v_add_nc_u32_e32 v5, 4, v5
	ds_bpermute_b32 v6, v6, v7
	s_waitcnt lgkmcnt(0)
	v_add_f16_e32 v6, v0, v6
	s_delay_alu instid0(VALU_DEP_1) | instskip(NEXT) | instid1(VALU_DEP_1)
	v_and_b32_e32 v9, 0xffff, v6
	v_cndmask_b32_e32 v7, v7, v9, vcc_lo
	v_cndmask_b32_e32 v9, v0, v6, vcc_lo
	ds_bpermute_b32 v8, v8, v7
	s_waitcnt lgkmcnt(0)
	v_add_f16_e32 v8, v8, v9
	s_delay_alu instid0(VALU_DEP_1) | instskip(SKIP_1) | instid1(VALU_DEP_2)
	v_and_b32_e32 v12, 0xffff, v8
	v_cndmask_b32_e64 v6, v8, v6, s0
	v_cndmask_b32_e64 v7, v12, v7, s0
	s_delay_alu instid0(VALU_DEP_2) | instskip(SKIP_4) | instid1(VALU_DEP_1)
	v_cndmask_b32_e32 v0, v0, v6, vcc_lo
	v_cmp_gt_u32_e32 vcc_lo, v5, v1
	ds_bpermute_b32 v4, v4, v7
	v_cndmask_b32_e64 v7, v8, v9, s0
	s_waitcnt lgkmcnt(0)
	v_add_f16_e32 v4, v4, v7
	s_delay_alu instid0(VALU_DEP_1)
	v_cndmask_b32_e32 v4, v4, v0, vcc_lo
	v_add_co_u32 v0, vcc_lo, s2, v2
	v_add_co_ci_u32_e32 v1, vcc_lo, s3, v3, vcc_lo
	global_store_b16 v[0:1], v4, off
	s_nop 0
	s_sendmsg sendmsg(MSG_DEALLOC_VGPRS)
	s_endpgm
	.section	.rodata,"a",@progbits
	.p2align	6, 0x0
	.amdhsa_kernel _Z33head_segmented_warp_reduce_kernelI6__halfhLj64ELj8EENSt9enable_ifIXsr10test_utilsE35device_test_enabled_for_warp_size_vIXT2_EEEvE4typeEPT_PT0_S5_
		.amdhsa_group_segment_fixed_size 0
		.amdhsa_private_segment_fixed_size 0
		.amdhsa_kernarg_size 280
		.amdhsa_user_sgpr_count 15
		.amdhsa_user_sgpr_dispatch_ptr 0
		.amdhsa_user_sgpr_queue_ptr 0
		.amdhsa_user_sgpr_kernarg_segment_ptr 1
		.amdhsa_user_sgpr_dispatch_id 0
		.amdhsa_user_sgpr_private_segment_size 0
		.amdhsa_wavefront_size32 1
		.amdhsa_uses_dynamic_stack 0
		.amdhsa_enable_private_segment 0
		.amdhsa_system_sgpr_workgroup_id_x 1
		.amdhsa_system_sgpr_workgroup_id_y 0
		.amdhsa_system_sgpr_workgroup_id_z 0
		.amdhsa_system_sgpr_workgroup_info 0
		.amdhsa_system_vgpr_workitem_id 0
		.amdhsa_next_free_vgpr 13
		.amdhsa_next_free_sgpr 16
		.amdhsa_reserve_vcc 1
		.amdhsa_float_round_mode_32 0
		.amdhsa_float_round_mode_16_64 0
		.amdhsa_float_denorm_mode_32 3
		.amdhsa_float_denorm_mode_16_64 3
		.amdhsa_dx10_clamp 1
		.amdhsa_ieee_mode 1
		.amdhsa_fp16_overflow 0
		.amdhsa_workgroup_processor_mode 1
		.amdhsa_memory_ordered 1
		.amdhsa_forward_progress 0
		.amdhsa_shared_vgpr_count 0
		.amdhsa_exception_fp_ieee_invalid_op 0
		.amdhsa_exception_fp_denorm_src 0
		.amdhsa_exception_fp_ieee_div_zero 0
		.amdhsa_exception_fp_ieee_overflow 0
		.amdhsa_exception_fp_ieee_underflow 0
		.amdhsa_exception_fp_ieee_inexact 0
		.amdhsa_exception_int_div_zero 0
	.end_amdhsa_kernel
	.section	.text._Z33head_segmented_warp_reduce_kernelI6__halfhLj64ELj8EENSt9enable_ifIXsr10test_utilsE35device_test_enabled_for_warp_size_vIXT2_EEEvE4typeEPT_PT0_S5_,"axG",@progbits,_Z33head_segmented_warp_reduce_kernelI6__halfhLj64ELj8EENSt9enable_ifIXsr10test_utilsE35device_test_enabled_for_warp_size_vIXT2_EEEvE4typeEPT_PT0_S5_,comdat
.Lfunc_end163:
	.size	_Z33head_segmented_warp_reduce_kernelI6__halfhLj64ELj8EENSt9enable_ifIXsr10test_utilsE35device_test_enabled_for_warp_size_vIXT2_EEEvE4typeEPT_PT0_S5_, .Lfunc_end163-_Z33head_segmented_warp_reduce_kernelI6__halfhLj64ELj8EENSt9enable_ifIXsr10test_utilsE35device_test_enabled_for_warp_size_vIXT2_EEEvE4typeEPT_PT0_S5_
                                        ; -- End function
	.section	.AMDGPU.csdata,"",@progbits
; Kernel info:
; codeLenInByte = 424
; NumSgprs: 18
; NumVgprs: 13
; ScratchSize: 0
; MemoryBound: 0
; FloatMode: 240
; IeeeMode: 1
; LDSByteSize: 0 bytes/workgroup (compile time only)
; SGPRBlocks: 2
; VGPRBlocks: 1
; NumSGPRsForWavesPerEU: 18
; NumVGPRsForWavesPerEU: 13
; Occupancy: 16
; WaveLimiterHint : 0
; COMPUTE_PGM_RSRC2:SCRATCH_EN: 0
; COMPUTE_PGM_RSRC2:USER_SGPR: 15
; COMPUTE_PGM_RSRC2:TRAP_HANDLER: 0
; COMPUTE_PGM_RSRC2:TGID_X_EN: 1
; COMPUTE_PGM_RSRC2:TGID_Y_EN: 0
; COMPUTE_PGM_RSRC2:TGID_Z_EN: 0
; COMPUTE_PGM_RSRC2:TIDIG_COMP_CNT: 0
	.section	.text._Z33head_segmented_warp_reduce_kernelI6__halfhLj32ELj4EENSt9enable_ifIXsr10test_utilsE35device_test_enabled_for_warp_size_vIXT2_EEEvE4typeEPT_PT0_S5_,"axG",@progbits,_Z33head_segmented_warp_reduce_kernelI6__halfhLj32ELj4EENSt9enable_ifIXsr10test_utilsE35device_test_enabled_for_warp_size_vIXT2_EEEvE4typeEPT_PT0_S5_,comdat
	.protected	_Z33head_segmented_warp_reduce_kernelI6__halfhLj32ELj4EENSt9enable_ifIXsr10test_utilsE35device_test_enabled_for_warp_size_vIXT2_EEEvE4typeEPT_PT0_S5_ ; -- Begin function _Z33head_segmented_warp_reduce_kernelI6__halfhLj32ELj4EENSt9enable_ifIXsr10test_utilsE35device_test_enabled_for_warp_size_vIXT2_EEEvE4typeEPT_PT0_S5_
	.globl	_Z33head_segmented_warp_reduce_kernelI6__halfhLj32ELj4EENSt9enable_ifIXsr10test_utilsE35device_test_enabled_for_warp_size_vIXT2_EEEvE4typeEPT_PT0_S5_
	.p2align	8
	.type	_Z33head_segmented_warp_reduce_kernelI6__halfhLj32ELj4EENSt9enable_ifIXsr10test_utilsE35device_test_enabled_for_warp_size_vIXT2_EEEvE4typeEPT_PT0_S5_,@function
_Z33head_segmented_warp_reduce_kernelI6__halfhLj32ELj4EENSt9enable_ifIXsr10test_utilsE35device_test_enabled_for_warp_size_vIXT2_EEEvE4typeEPT_PT0_S5_: ; @_Z33head_segmented_warp_reduce_kernelI6__halfhLj32ELj4EENSt9enable_ifIXsr10test_utilsE35device_test_enabled_for_warp_size_vIXT2_EEEvE4typeEPT_PT0_S5_
; %bb.0:
	s_clause 0x1
	s_load_b32 s2, s[0:1], 0x24
	s_load_b128 s[4:7], s[0:1], 0x0
	s_waitcnt lgkmcnt(0)
	s_and_b32 s2, s2, 0xffff
	s_delay_alu instid0(SALU_CYCLE_1) | instskip(SKIP_2) | instid1(VALU_DEP_1)
	v_mad_u64_u32 v[1:2], null, s15, s2, v[0:1]
	v_mov_b32_e32 v2, 0
	s_load_b64 s[2:3], s[0:1], 0x10
	v_lshlrev_b64 v[2:3], 1, v[1:2]
	s_delay_alu instid0(VALU_DEP_1) | instskip(NEXT) | instid1(VALU_DEP_2)
	v_add_co_u32 v4, vcc_lo, s4, v2
	v_add_co_ci_u32_e32 v5, vcc_lo, s5, v3, vcc_lo
	global_load_u16 v0, v[4:5], off
	global_load_u8 v1, v1, s[6:7]
	v_mbcnt_lo_u32_b32 v4, -1, 0
	s_delay_alu instid0(VALU_DEP_1) | instskip(SKIP_1) | instid1(VALU_DEP_2)
	v_and_b32_e32 v5, 3, v4
	v_and_b32_e32 v8, 28, v4
	v_cmp_ne_u32_e32 vcc_lo, 3, v5
	v_add_co_ci_u32_e32 v6, vcc_lo, 0, v4, vcc_lo
	s_waitcnt vmcnt(0)
	v_cmp_ne_u16_e32 vcc_lo, 0, v1
	v_lshlrev_b32_e64 v1, v4, -1
	s_lshr_b32 s0, vcc_lo, 1
	v_cmp_gt_u32_e32 vcc_lo, 2, v5
	s_delay_alu instid0(VALU_DEP_2) | instskip(NEXT) | instid1(VALU_DEP_1)
	v_and_b32_e32 v1, s0, v1
	v_lshrrev_b32_e32 v1, v8, v1
	v_cndmask_b32_e64 v8, 0, 1, vcc_lo
	s_delay_alu instid0(VALU_DEP_2) | instskip(NEXT) | instid1(VALU_DEP_2)
	v_or_b32_e32 v1, 8, v1
	v_lshlrev_b32_e32 v8, 1, v8
	s_delay_alu instid0(VALU_DEP_2) | instskip(NEXT) | instid1(VALU_DEP_2)
	v_ctz_i32_b32_e32 v1, v1
	v_add_lshl_u32 v4, v8, v4, 2
	s_delay_alu instid0(VALU_DEP_2)
	v_cmp_lt_u32_e32 vcc_lo, v5, v1
	v_and_b32_e32 v7, 0xffff, v0
	v_lshlrev_b32_e32 v6, 2, v6
	v_add_nc_u32_e32 v5, 2, v5
	ds_bpermute_b32 v6, v6, v7
	v_cmp_gt_u32_e64 s0, v5, v1
	s_waitcnt lgkmcnt(0)
	v_add_f16_e32 v6, v0, v6
	s_delay_alu instid0(VALU_DEP_1) | instskip(NEXT) | instid1(VALU_DEP_1)
	v_and_b32_e32 v9, 0xffff, v6
	v_cndmask_b32_e32 v7, v7, v9, vcc_lo
	ds_bpermute_b32 v4, v4, v7
	s_waitcnt lgkmcnt(0)
	v_add_f16_e32 v4, v6, v4
	s_delay_alu instid0(VALU_DEP_1) | instskip(NEXT) | instid1(VALU_DEP_1)
	v_cndmask_b32_e64 v1, v4, v6, s0
	v_cndmask_b32_e32 v4, v0, v1, vcc_lo
	v_add_co_u32 v0, vcc_lo, s2, v2
	v_add_co_ci_u32_e32 v1, vcc_lo, s3, v3, vcc_lo
	global_store_b16 v[0:1], v4, off
	s_nop 0
	s_sendmsg sendmsg(MSG_DEALLOC_VGPRS)
	s_endpgm
	.section	.rodata,"a",@progbits
	.p2align	6, 0x0
	.amdhsa_kernel _Z33head_segmented_warp_reduce_kernelI6__halfhLj32ELj4EENSt9enable_ifIXsr10test_utilsE35device_test_enabled_for_warp_size_vIXT2_EEEvE4typeEPT_PT0_S5_
		.amdhsa_group_segment_fixed_size 0
		.amdhsa_private_segment_fixed_size 0
		.amdhsa_kernarg_size 280
		.amdhsa_user_sgpr_count 15
		.amdhsa_user_sgpr_dispatch_ptr 0
		.amdhsa_user_sgpr_queue_ptr 0
		.amdhsa_user_sgpr_kernarg_segment_ptr 1
		.amdhsa_user_sgpr_dispatch_id 0
		.amdhsa_user_sgpr_private_segment_size 0
		.amdhsa_wavefront_size32 1
		.amdhsa_uses_dynamic_stack 0
		.amdhsa_enable_private_segment 0
		.amdhsa_system_sgpr_workgroup_id_x 1
		.amdhsa_system_sgpr_workgroup_id_y 0
		.amdhsa_system_sgpr_workgroup_id_z 0
		.amdhsa_system_sgpr_workgroup_info 0
		.amdhsa_system_vgpr_workitem_id 0
		.amdhsa_next_free_vgpr 10
		.amdhsa_next_free_sgpr 16
		.amdhsa_reserve_vcc 1
		.amdhsa_float_round_mode_32 0
		.amdhsa_float_round_mode_16_64 0
		.amdhsa_float_denorm_mode_32 3
		.amdhsa_float_denorm_mode_16_64 3
		.amdhsa_dx10_clamp 1
		.amdhsa_ieee_mode 1
		.amdhsa_fp16_overflow 0
		.amdhsa_workgroup_processor_mode 1
		.amdhsa_memory_ordered 1
		.amdhsa_forward_progress 0
		.amdhsa_shared_vgpr_count 0
		.amdhsa_exception_fp_ieee_invalid_op 0
		.amdhsa_exception_fp_denorm_src 0
		.amdhsa_exception_fp_ieee_div_zero 0
		.amdhsa_exception_fp_ieee_overflow 0
		.amdhsa_exception_fp_ieee_underflow 0
		.amdhsa_exception_fp_ieee_inexact 0
		.amdhsa_exception_int_div_zero 0
	.end_amdhsa_kernel
	.section	.text._Z33head_segmented_warp_reduce_kernelI6__halfhLj32ELj4EENSt9enable_ifIXsr10test_utilsE35device_test_enabled_for_warp_size_vIXT2_EEEvE4typeEPT_PT0_S5_,"axG",@progbits,_Z33head_segmented_warp_reduce_kernelI6__halfhLj32ELj4EENSt9enable_ifIXsr10test_utilsE35device_test_enabled_for_warp_size_vIXT2_EEEvE4typeEPT_PT0_S5_,comdat
.Lfunc_end164:
	.size	_Z33head_segmented_warp_reduce_kernelI6__halfhLj32ELj4EENSt9enable_ifIXsr10test_utilsE35device_test_enabled_for_warp_size_vIXT2_EEEvE4typeEPT_PT0_S5_, .Lfunc_end164-_Z33head_segmented_warp_reduce_kernelI6__halfhLj32ELj4EENSt9enable_ifIXsr10test_utilsE35device_test_enabled_for_warp_size_vIXT2_EEEvE4typeEPT_PT0_S5_
                                        ; -- End function
	.section	.AMDGPU.csdata,"",@progbits
; Kernel info:
; codeLenInByte = 324
; NumSgprs: 18
; NumVgprs: 10
; ScratchSize: 0
; MemoryBound: 0
; FloatMode: 240
; IeeeMode: 1
; LDSByteSize: 0 bytes/workgroup (compile time only)
; SGPRBlocks: 2
; VGPRBlocks: 1
; NumSGPRsForWavesPerEU: 18
; NumVGPRsForWavesPerEU: 10
; Occupancy: 16
; WaveLimiterHint : 0
; COMPUTE_PGM_RSRC2:SCRATCH_EN: 0
; COMPUTE_PGM_RSRC2:USER_SGPR: 15
; COMPUTE_PGM_RSRC2:TRAP_HANDLER: 0
; COMPUTE_PGM_RSRC2:TGID_X_EN: 1
; COMPUTE_PGM_RSRC2:TGID_Y_EN: 0
; COMPUTE_PGM_RSRC2:TGID_Z_EN: 0
; COMPUTE_PGM_RSRC2:TIDIG_COMP_CNT: 0
	.section	.text._Z33head_segmented_warp_reduce_kernelI6__halfhLj64ELj4EENSt9enable_ifIXsr10test_utilsE35device_test_enabled_for_warp_size_vIXT2_EEEvE4typeEPT_PT0_S5_,"axG",@progbits,_Z33head_segmented_warp_reduce_kernelI6__halfhLj64ELj4EENSt9enable_ifIXsr10test_utilsE35device_test_enabled_for_warp_size_vIXT2_EEEvE4typeEPT_PT0_S5_,comdat
	.protected	_Z33head_segmented_warp_reduce_kernelI6__halfhLj64ELj4EENSt9enable_ifIXsr10test_utilsE35device_test_enabled_for_warp_size_vIXT2_EEEvE4typeEPT_PT0_S5_ ; -- Begin function _Z33head_segmented_warp_reduce_kernelI6__halfhLj64ELj4EENSt9enable_ifIXsr10test_utilsE35device_test_enabled_for_warp_size_vIXT2_EEEvE4typeEPT_PT0_S5_
	.globl	_Z33head_segmented_warp_reduce_kernelI6__halfhLj64ELj4EENSt9enable_ifIXsr10test_utilsE35device_test_enabled_for_warp_size_vIXT2_EEEvE4typeEPT_PT0_S5_
	.p2align	8
	.type	_Z33head_segmented_warp_reduce_kernelI6__halfhLj64ELj4EENSt9enable_ifIXsr10test_utilsE35device_test_enabled_for_warp_size_vIXT2_EEEvE4typeEPT_PT0_S5_,@function
_Z33head_segmented_warp_reduce_kernelI6__halfhLj64ELj4EENSt9enable_ifIXsr10test_utilsE35device_test_enabled_for_warp_size_vIXT2_EEEvE4typeEPT_PT0_S5_: ; @_Z33head_segmented_warp_reduce_kernelI6__halfhLj64ELj4EENSt9enable_ifIXsr10test_utilsE35device_test_enabled_for_warp_size_vIXT2_EEEvE4typeEPT_PT0_S5_
; %bb.0:
	s_clause 0x1
	s_load_b32 s2, s[0:1], 0x24
	s_load_b128 s[4:7], s[0:1], 0x0
	s_waitcnt lgkmcnt(0)
	s_and_b32 s2, s2, 0xffff
	s_delay_alu instid0(SALU_CYCLE_1) | instskip(SKIP_2) | instid1(VALU_DEP_1)
	v_mad_u64_u32 v[1:2], null, s15, s2, v[0:1]
	v_mov_b32_e32 v2, 0
	s_load_b64 s[2:3], s[0:1], 0x10
	v_lshlrev_b64 v[2:3], 1, v[1:2]
	s_delay_alu instid0(VALU_DEP_1) | instskip(NEXT) | instid1(VALU_DEP_2)
	v_add_co_u32 v4, vcc_lo, s4, v2
	v_add_co_ci_u32_e32 v5, vcc_lo, s5, v3, vcc_lo
	global_load_u16 v0, v[4:5], off
	global_load_u8 v1, v1, s[6:7]
	v_mbcnt_lo_u32_b32 v4, -1, 0
	s_delay_alu instid0(VALU_DEP_1) | instskip(SKIP_1) | instid1(VALU_DEP_2)
	v_and_b32_e32 v5, 3, v4
	v_and_b32_e32 v8, 28, v4
	v_cmp_ne_u32_e32 vcc_lo, 3, v5
	v_add_co_ci_u32_e32 v6, vcc_lo, 0, v4, vcc_lo
	s_waitcnt vmcnt(0)
	v_cmp_ne_u16_e32 vcc_lo, 0, v1
	v_lshlrev_b32_e64 v1, v4, -1
	s_lshr_b32 s0, vcc_lo, 1
	v_cmp_gt_u32_e32 vcc_lo, 2, v5
	s_delay_alu instid0(VALU_DEP_2) | instskip(NEXT) | instid1(VALU_DEP_1)
	v_and_b32_e32 v1, s0, v1
	v_lshrrev_b32_e32 v1, v8, v1
	v_cndmask_b32_e64 v8, 0, 1, vcc_lo
	s_delay_alu instid0(VALU_DEP_2) | instskip(NEXT) | instid1(VALU_DEP_2)
	v_or_b32_e32 v1, 8, v1
	v_lshlrev_b32_e32 v8, 1, v8
	s_delay_alu instid0(VALU_DEP_2) | instskip(NEXT) | instid1(VALU_DEP_2)
	v_ctz_i32_b32_e32 v1, v1
	v_add_lshl_u32 v4, v8, v4, 2
	s_delay_alu instid0(VALU_DEP_2)
	v_cmp_lt_u32_e32 vcc_lo, v5, v1
	v_and_b32_e32 v7, 0xffff, v0
	v_lshlrev_b32_e32 v6, 2, v6
	v_add_nc_u32_e32 v5, 2, v5
	ds_bpermute_b32 v6, v6, v7
	v_cmp_gt_u32_e64 s0, v5, v1
	s_waitcnt lgkmcnt(0)
	v_add_f16_e32 v6, v0, v6
	s_delay_alu instid0(VALU_DEP_1) | instskip(NEXT) | instid1(VALU_DEP_1)
	v_and_b32_e32 v9, 0xffff, v6
	v_cndmask_b32_e32 v7, v7, v9, vcc_lo
	ds_bpermute_b32 v4, v4, v7
	s_waitcnt lgkmcnt(0)
	v_add_f16_e32 v4, v6, v4
	s_delay_alu instid0(VALU_DEP_1) | instskip(NEXT) | instid1(VALU_DEP_1)
	v_cndmask_b32_e64 v1, v4, v6, s0
	v_cndmask_b32_e32 v4, v0, v1, vcc_lo
	v_add_co_u32 v0, vcc_lo, s2, v2
	v_add_co_ci_u32_e32 v1, vcc_lo, s3, v3, vcc_lo
	global_store_b16 v[0:1], v4, off
	s_nop 0
	s_sendmsg sendmsg(MSG_DEALLOC_VGPRS)
	s_endpgm
	.section	.rodata,"a",@progbits
	.p2align	6, 0x0
	.amdhsa_kernel _Z33head_segmented_warp_reduce_kernelI6__halfhLj64ELj4EENSt9enable_ifIXsr10test_utilsE35device_test_enabled_for_warp_size_vIXT2_EEEvE4typeEPT_PT0_S5_
		.amdhsa_group_segment_fixed_size 0
		.amdhsa_private_segment_fixed_size 0
		.amdhsa_kernarg_size 280
		.amdhsa_user_sgpr_count 15
		.amdhsa_user_sgpr_dispatch_ptr 0
		.amdhsa_user_sgpr_queue_ptr 0
		.amdhsa_user_sgpr_kernarg_segment_ptr 1
		.amdhsa_user_sgpr_dispatch_id 0
		.amdhsa_user_sgpr_private_segment_size 0
		.amdhsa_wavefront_size32 1
		.amdhsa_uses_dynamic_stack 0
		.amdhsa_enable_private_segment 0
		.amdhsa_system_sgpr_workgroup_id_x 1
		.amdhsa_system_sgpr_workgroup_id_y 0
		.amdhsa_system_sgpr_workgroup_id_z 0
		.amdhsa_system_sgpr_workgroup_info 0
		.amdhsa_system_vgpr_workitem_id 0
		.amdhsa_next_free_vgpr 10
		.amdhsa_next_free_sgpr 16
		.amdhsa_reserve_vcc 1
		.amdhsa_float_round_mode_32 0
		.amdhsa_float_round_mode_16_64 0
		.amdhsa_float_denorm_mode_32 3
		.amdhsa_float_denorm_mode_16_64 3
		.amdhsa_dx10_clamp 1
		.amdhsa_ieee_mode 1
		.amdhsa_fp16_overflow 0
		.amdhsa_workgroup_processor_mode 1
		.amdhsa_memory_ordered 1
		.amdhsa_forward_progress 0
		.amdhsa_shared_vgpr_count 0
		.amdhsa_exception_fp_ieee_invalid_op 0
		.amdhsa_exception_fp_denorm_src 0
		.amdhsa_exception_fp_ieee_div_zero 0
		.amdhsa_exception_fp_ieee_overflow 0
		.amdhsa_exception_fp_ieee_underflow 0
		.amdhsa_exception_fp_ieee_inexact 0
		.amdhsa_exception_int_div_zero 0
	.end_amdhsa_kernel
	.section	.text._Z33head_segmented_warp_reduce_kernelI6__halfhLj64ELj4EENSt9enable_ifIXsr10test_utilsE35device_test_enabled_for_warp_size_vIXT2_EEEvE4typeEPT_PT0_S5_,"axG",@progbits,_Z33head_segmented_warp_reduce_kernelI6__halfhLj64ELj4EENSt9enable_ifIXsr10test_utilsE35device_test_enabled_for_warp_size_vIXT2_EEEvE4typeEPT_PT0_S5_,comdat
.Lfunc_end165:
	.size	_Z33head_segmented_warp_reduce_kernelI6__halfhLj64ELj4EENSt9enable_ifIXsr10test_utilsE35device_test_enabled_for_warp_size_vIXT2_EEEvE4typeEPT_PT0_S5_, .Lfunc_end165-_Z33head_segmented_warp_reduce_kernelI6__halfhLj64ELj4EENSt9enable_ifIXsr10test_utilsE35device_test_enabled_for_warp_size_vIXT2_EEEvE4typeEPT_PT0_S5_
                                        ; -- End function
	.section	.AMDGPU.csdata,"",@progbits
; Kernel info:
; codeLenInByte = 324
; NumSgprs: 18
; NumVgprs: 10
; ScratchSize: 0
; MemoryBound: 0
; FloatMode: 240
; IeeeMode: 1
; LDSByteSize: 0 bytes/workgroup (compile time only)
; SGPRBlocks: 2
; VGPRBlocks: 1
; NumSGPRsForWavesPerEU: 18
; NumVGPRsForWavesPerEU: 10
; Occupancy: 16
; WaveLimiterHint : 0
; COMPUTE_PGM_RSRC2:SCRATCH_EN: 0
; COMPUTE_PGM_RSRC2:USER_SGPR: 15
; COMPUTE_PGM_RSRC2:TRAP_HANDLER: 0
; COMPUTE_PGM_RSRC2:TGID_X_EN: 1
; COMPUTE_PGM_RSRC2:TGID_Y_EN: 0
; COMPUTE_PGM_RSRC2:TGID_Z_EN: 0
; COMPUTE_PGM_RSRC2:TIDIG_COMP_CNT: 0
	.section	.text._Z33head_segmented_warp_reduce_kernelI6__halfhLj32ELj2EENSt9enable_ifIXsr10test_utilsE35device_test_enabled_for_warp_size_vIXT2_EEEvE4typeEPT_PT0_S5_,"axG",@progbits,_Z33head_segmented_warp_reduce_kernelI6__halfhLj32ELj2EENSt9enable_ifIXsr10test_utilsE35device_test_enabled_for_warp_size_vIXT2_EEEvE4typeEPT_PT0_S5_,comdat
	.protected	_Z33head_segmented_warp_reduce_kernelI6__halfhLj32ELj2EENSt9enable_ifIXsr10test_utilsE35device_test_enabled_for_warp_size_vIXT2_EEEvE4typeEPT_PT0_S5_ ; -- Begin function _Z33head_segmented_warp_reduce_kernelI6__halfhLj32ELj2EENSt9enable_ifIXsr10test_utilsE35device_test_enabled_for_warp_size_vIXT2_EEEvE4typeEPT_PT0_S5_
	.globl	_Z33head_segmented_warp_reduce_kernelI6__halfhLj32ELj2EENSt9enable_ifIXsr10test_utilsE35device_test_enabled_for_warp_size_vIXT2_EEEvE4typeEPT_PT0_S5_
	.p2align	8
	.type	_Z33head_segmented_warp_reduce_kernelI6__halfhLj32ELj2EENSt9enable_ifIXsr10test_utilsE35device_test_enabled_for_warp_size_vIXT2_EEEvE4typeEPT_PT0_S5_,@function
_Z33head_segmented_warp_reduce_kernelI6__halfhLj32ELj2EENSt9enable_ifIXsr10test_utilsE35device_test_enabled_for_warp_size_vIXT2_EEEvE4typeEPT_PT0_S5_: ; @_Z33head_segmented_warp_reduce_kernelI6__halfhLj32ELj2EENSt9enable_ifIXsr10test_utilsE35device_test_enabled_for_warp_size_vIXT2_EEEvE4typeEPT_PT0_S5_
; %bb.0:
	s_clause 0x2
	s_load_b32 s2, s[0:1], 0x24
	s_load_b128 s[4:7], s[0:1], 0x0
	s_load_b64 s[0:1], s[0:1], 0x10
	s_waitcnt lgkmcnt(0)
	s_and_b32 s2, s2, 0xffff
	s_delay_alu instid0(SALU_CYCLE_1) | instskip(SKIP_1) | instid1(VALU_DEP_1)
	v_mad_u64_u32 v[1:2], null, s15, s2, v[0:1]
	v_mov_b32_e32 v2, 0
	v_lshlrev_b64 v[2:3], 1, v[1:2]
	s_delay_alu instid0(VALU_DEP_1) | instskip(NEXT) | instid1(VALU_DEP_2)
	v_add_co_u32 v4, vcc_lo, s4, v2
	v_add_co_ci_u32_e32 v5, vcc_lo, s5, v3, vcc_lo
	global_load_u16 v0, v[4:5], off
	global_load_u8 v1, v1, s[6:7]
	v_mbcnt_lo_u32_b32 v4, -1, 0
	s_delay_alu instid0(VALU_DEP_1)
	v_lshl_or_b32 v5, v4, 2, 4
	s_waitcnt vmcnt(1)
	v_and_b32_e32 v6, 0xffff, v0
	s_waitcnt vmcnt(0)
	v_cmp_ne_u16_e32 vcc_lo, 0, v1
	v_lshlrev_b32_e64 v1, v4, -1
	ds_bpermute_b32 v5, v5, v6
	s_lshr_b32 s2, vcc_lo, 1
	v_and_b32_e32 v6, 30, v4
	v_and_b32_e32 v1, s2, v1
	;; [unrolled: 1-line block ×3, first 2 shown]
	s_delay_alu instid0(VALU_DEP_2) | instskip(NEXT) | instid1(VALU_DEP_1)
	v_lshrrev_b32_e32 v1, v6, v1
	v_or_b32_e32 v1, 2, v1
	s_delay_alu instid0(VALU_DEP_1) | instskip(SKIP_2) | instid1(VALU_DEP_2)
	v_ctz_i32_b32_e32 v1, v1
	s_waitcnt lgkmcnt(0)
	v_add_f16_e32 v5, v0, v5
	v_cmp_lt_u32_e32 vcc_lo, v4, v1
	s_delay_alu instid0(VALU_DEP_2)
	v_cndmask_b32_e32 v4, v0, v5, vcc_lo
	v_add_co_u32 v0, vcc_lo, s0, v2
	v_add_co_ci_u32_e32 v1, vcc_lo, s1, v3, vcc_lo
	global_store_b16 v[0:1], v4, off
	s_nop 0
	s_sendmsg sendmsg(MSG_DEALLOC_VGPRS)
	s_endpgm
	.section	.rodata,"a",@progbits
	.p2align	6, 0x0
	.amdhsa_kernel _Z33head_segmented_warp_reduce_kernelI6__halfhLj32ELj2EENSt9enable_ifIXsr10test_utilsE35device_test_enabled_for_warp_size_vIXT2_EEEvE4typeEPT_PT0_S5_
		.amdhsa_group_segment_fixed_size 0
		.amdhsa_private_segment_fixed_size 0
		.amdhsa_kernarg_size 280
		.amdhsa_user_sgpr_count 15
		.amdhsa_user_sgpr_dispatch_ptr 0
		.amdhsa_user_sgpr_queue_ptr 0
		.amdhsa_user_sgpr_kernarg_segment_ptr 1
		.amdhsa_user_sgpr_dispatch_id 0
		.amdhsa_user_sgpr_private_segment_size 0
		.amdhsa_wavefront_size32 1
		.amdhsa_uses_dynamic_stack 0
		.amdhsa_enable_private_segment 0
		.amdhsa_system_sgpr_workgroup_id_x 1
		.amdhsa_system_sgpr_workgroup_id_y 0
		.amdhsa_system_sgpr_workgroup_id_z 0
		.amdhsa_system_sgpr_workgroup_info 0
		.amdhsa_system_vgpr_workitem_id 0
		.amdhsa_next_free_vgpr 7
		.amdhsa_next_free_sgpr 16
		.amdhsa_reserve_vcc 1
		.amdhsa_float_round_mode_32 0
		.amdhsa_float_round_mode_16_64 0
		.amdhsa_float_denorm_mode_32 3
		.amdhsa_float_denorm_mode_16_64 3
		.amdhsa_dx10_clamp 1
		.amdhsa_ieee_mode 1
		.amdhsa_fp16_overflow 0
		.amdhsa_workgroup_processor_mode 1
		.amdhsa_memory_ordered 1
		.amdhsa_forward_progress 0
		.amdhsa_shared_vgpr_count 0
		.amdhsa_exception_fp_ieee_invalid_op 0
		.amdhsa_exception_fp_denorm_src 0
		.amdhsa_exception_fp_ieee_div_zero 0
		.amdhsa_exception_fp_ieee_overflow 0
		.amdhsa_exception_fp_ieee_underflow 0
		.amdhsa_exception_fp_ieee_inexact 0
		.amdhsa_exception_int_div_zero 0
	.end_amdhsa_kernel
	.section	.text._Z33head_segmented_warp_reduce_kernelI6__halfhLj32ELj2EENSt9enable_ifIXsr10test_utilsE35device_test_enabled_for_warp_size_vIXT2_EEEvE4typeEPT_PT0_S5_,"axG",@progbits,_Z33head_segmented_warp_reduce_kernelI6__halfhLj32ELj2EENSt9enable_ifIXsr10test_utilsE35device_test_enabled_for_warp_size_vIXT2_EEEvE4typeEPT_PT0_S5_,comdat
.Lfunc_end166:
	.size	_Z33head_segmented_warp_reduce_kernelI6__halfhLj32ELj2EENSt9enable_ifIXsr10test_utilsE35device_test_enabled_for_warp_size_vIXT2_EEEvE4typeEPT_PT0_S5_, .Lfunc_end166-_Z33head_segmented_warp_reduce_kernelI6__halfhLj32ELj2EENSt9enable_ifIXsr10test_utilsE35device_test_enabled_for_warp_size_vIXT2_EEEvE4typeEPT_PT0_S5_
                                        ; -- End function
	.section	.AMDGPU.csdata,"",@progbits
; Kernel info:
; codeLenInByte = 240
; NumSgprs: 18
; NumVgprs: 7
; ScratchSize: 0
; MemoryBound: 0
; FloatMode: 240
; IeeeMode: 1
; LDSByteSize: 0 bytes/workgroup (compile time only)
; SGPRBlocks: 2
; VGPRBlocks: 0
; NumSGPRsForWavesPerEU: 18
; NumVGPRsForWavesPerEU: 7
; Occupancy: 16
; WaveLimiterHint : 0
; COMPUTE_PGM_RSRC2:SCRATCH_EN: 0
; COMPUTE_PGM_RSRC2:USER_SGPR: 15
; COMPUTE_PGM_RSRC2:TRAP_HANDLER: 0
; COMPUTE_PGM_RSRC2:TGID_X_EN: 1
; COMPUTE_PGM_RSRC2:TGID_Y_EN: 0
; COMPUTE_PGM_RSRC2:TGID_Z_EN: 0
; COMPUTE_PGM_RSRC2:TIDIG_COMP_CNT: 0
	.section	.text._Z33head_segmented_warp_reduce_kernelI6__halfhLj64ELj2EENSt9enable_ifIXsr10test_utilsE35device_test_enabled_for_warp_size_vIXT2_EEEvE4typeEPT_PT0_S5_,"axG",@progbits,_Z33head_segmented_warp_reduce_kernelI6__halfhLj64ELj2EENSt9enable_ifIXsr10test_utilsE35device_test_enabled_for_warp_size_vIXT2_EEEvE4typeEPT_PT0_S5_,comdat
	.protected	_Z33head_segmented_warp_reduce_kernelI6__halfhLj64ELj2EENSt9enable_ifIXsr10test_utilsE35device_test_enabled_for_warp_size_vIXT2_EEEvE4typeEPT_PT0_S5_ ; -- Begin function _Z33head_segmented_warp_reduce_kernelI6__halfhLj64ELj2EENSt9enable_ifIXsr10test_utilsE35device_test_enabled_for_warp_size_vIXT2_EEEvE4typeEPT_PT0_S5_
	.globl	_Z33head_segmented_warp_reduce_kernelI6__halfhLj64ELj2EENSt9enable_ifIXsr10test_utilsE35device_test_enabled_for_warp_size_vIXT2_EEEvE4typeEPT_PT0_S5_
	.p2align	8
	.type	_Z33head_segmented_warp_reduce_kernelI6__halfhLj64ELj2EENSt9enable_ifIXsr10test_utilsE35device_test_enabled_for_warp_size_vIXT2_EEEvE4typeEPT_PT0_S5_,@function
_Z33head_segmented_warp_reduce_kernelI6__halfhLj64ELj2EENSt9enable_ifIXsr10test_utilsE35device_test_enabled_for_warp_size_vIXT2_EEEvE4typeEPT_PT0_S5_: ; @_Z33head_segmented_warp_reduce_kernelI6__halfhLj64ELj2EENSt9enable_ifIXsr10test_utilsE35device_test_enabled_for_warp_size_vIXT2_EEEvE4typeEPT_PT0_S5_
; %bb.0:
	s_clause 0x2
	s_load_b32 s2, s[0:1], 0x24
	s_load_b128 s[4:7], s[0:1], 0x0
	s_load_b64 s[0:1], s[0:1], 0x10
	s_waitcnt lgkmcnt(0)
	s_and_b32 s2, s2, 0xffff
	s_delay_alu instid0(SALU_CYCLE_1) | instskip(SKIP_1) | instid1(VALU_DEP_1)
	v_mad_u64_u32 v[1:2], null, s15, s2, v[0:1]
	v_mov_b32_e32 v2, 0
	v_lshlrev_b64 v[2:3], 1, v[1:2]
	s_delay_alu instid0(VALU_DEP_1) | instskip(NEXT) | instid1(VALU_DEP_2)
	v_add_co_u32 v4, vcc_lo, s4, v2
	v_add_co_ci_u32_e32 v5, vcc_lo, s5, v3, vcc_lo
	global_load_u16 v0, v[4:5], off
	global_load_u8 v1, v1, s[6:7]
	v_mbcnt_lo_u32_b32 v4, -1, 0
	s_delay_alu instid0(VALU_DEP_1)
	v_lshl_or_b32 v5, v4, 2, 4
	s_waitcnt vmcnt(1)
	v_and_b32_e32 v6, 0xffff, v0
	s_waitcnt vmcnt(0)
	v_cmp_ne_u16_e32 vcc_lo, 0, v1
	v_lshlrev_b32_e64 v1, v4, -1
	ds_bpermute_b32 v5, v5, v6
	s_lshr_b32 s2, vcc_lo, 1
	v_and_b32_e32 v6, 30, v4
	v_and_b32_e32 v1, s2, v1
	;; [unrolled: 1-line block ×3, first 2 shown]
	s_delay_alu instid0(VALU_DEP_2) | instskip(NEXT) | instid1(VALU_DEP_1)
	v_lshrrev_b32_e32 v1, v6, v1
	v_or_b32_e32 v1, 2, v1
	s_delay_alu instid0(VALU_DEP_1) | instskip(SKIP_2) | instid1(VALU_DEP_2)
	v_ctz_i32_b32_e32 v1, v1
	s_waitcnt lgkmcnt(0)
	v_add_f16_e32 v5, v0, v5
	v_cmp_lt_u32_e32 vcc_lo, v4, v1
	s_delay_alu instid0(VALU_DEP_2)
	v_cndmask_b32_e32 v4, v0, v5, vcc_lo
	v_add_co_u32 v0, vcc_lo, s0, v2
	v_add_co_ci_u32_e32 v1, vcc_lo, s1, v3, vcc_lo
	global_store_b16 v[0:1], v4, off
	s_nop 0
	s_sendmsg sendmsg(MSG_DEALLOC_VGPRS)
	s_endpgm
	.section	.rodata,"a",@progbits
	.p2align	6, 0x0
	.amdhsa_kernel _Z33head_segmented_warp_reduce_kernelI6__halfhLj64ELj2EENSt9enable_ifIXsr10test_utilsE35device_test_enabled_for_warp_size_vIXT2_EEEvE4typeEPT_PT0_S5_
		.amdhsa_group_segment_fixed_size 0
		.amdhsa_private_segment_fixed_size 0
		.amdhsa_kernarg_size 280
		.amdhsa_user_sgpr_count 15
		.amdhsa_user_sgpr_dispatch_ptr 0
		.amdhsa_user_sgpr_queue_ptr 0
		.amdhsa_user_sgpr_kernarg_segment_ptr 1
		.amdhsa_user_sgpr_dispatch_id 0
		.amdhsa_user_sgpr_private_segment_size 0
		.amdhsa_wavefront_size32 1
		.amdhsa_uses_dynamic_stack 0
		.amdhsa_enable_private_segment 0
		.amdhsa_system_sgpr_workgroup_id_x 1
		.amdhsa_system_sgpr_workgroup_id_y 0
		.amdhsa_system_sgpr_workgroup_id_z 0
		.amdhsa_system_sgpr_workgroup_info 0
		.amdhsa_system_vgpr_workitem_id 0
		.amdhsa_next_free_vgpr 7
		.amdhsa_next_free_sgpr 16
		.amdhsa_reserve_vcc 1
		.amdhsa_float_round_mode_32 0
		.amdhsa_float_round_mode_16_64 0
		.amdhsa_float_denorm_mode_32 3
		.amdhsa_float_denorm_mode_16_64 3
		.amdhsa_dx10_clamp 1
		.amdhsa_ieee_mode 1
		.amdhsa_fp16_overflow 0
		.amdhsa_workgroup_processor_mode 1
		.amdhsa_memory_ordered 1
		.amdhsa_forward_progress 0
		.amdhsa_shared_vgpr_count 0
		.amdhsa_exception_fp_ieee_invalid_op 0
		.amdhsa_exception_fp_denorm_src 0
		.amdhsa_exception_fp_ieee_div_zero 0
		.amdhsa_exception_fp_ieee_overflow 0
		.amdhsa_exception_fp_ieee_underflow 0
		.amdhsa_exception_fp_ieee_inexact 0
		.amdhsa_exception_int_div_zero 0
	.end_amdhsa_kernel
	.section	.text._Z33head_segmented_warp_reduce_kernelI6__halfhLj64ELj2EENSt9enable_ifIXsr10test_utilsE35device_test_enabled_for_warp_size_vIXT2_EEEvE4typeEPT_PT0_S5_,"axG",@progbits,_Z33head_segmented_warp_reduce_kernelI6__halfhLj64ELj2EENSt9enable_ifIXsr10test_utilsE35device_test_enabled_for_warp_size_vIXT2_EEEvE4typeEPT_PT0_S5_,comdat
.Lfunc_end167:
	.size	_Z33head_segmented_warp_reduce_kernelI6__halfhLj64ELj2EENSt9enable_ifIXsr10test_utilsE35device_test_enabled_for_warp_size_vIXT2_EEEvE4typeEPT_PT0_S5_, .Lfunc_end167-_Z33head_segmented_warp_reduce_kernelI6__halfhLj64ELj2EENSt9enable_ifIXsr10test_utilsE35device_test_enabled_for_warp_size_vIXT2_EEEvE4typeEPT_PT0_S5_
                                        ; -- End function
	.section	.AMDGPU.csdata,"",@progbits
; Kernel info:
; codeLenInByte = 240
; NumSgprs: 18
; NumVgprs: 7
; ScratchSize: 0
; MemoryBound: 0
; FloatMode: 240
; IeeeMode: 1
; LDSByteSize: 0 bytes/workgroup (compile time only)
; SGPRBlocks: 2
; VGPRBlocks: 0
; NumSGPRsForWavesPerEU: 18
; NumVGPRsForWavesPerEU: 7
; Occupancy: 16
; WaveLimiterHint : 0
; COMPUTE_PGM_RSRC2:SCRATCH_EN: 0
; COMPUTE_PGM_RSRC2:USER_SGPR: 15
; COMPUTE_PGM_RSRC2:TRAP_HANDLER: 0
; COMPUTE_PGM_RSRC2:TGID_X_EN: 1
; COMPUTE_PGM_RSRC2:TGID_Y_EN: 0
; COMPUTE_PGM_RSRC2:TGID_Z_EN: 0
; COMPUTE_PGM_RSRC2:TIDIG_COMP_CNT: 0
	.section	.text._Z33head_segmented_warp_reduce_kernelI6__halfhLj32ELj1EENSt9enable_ifIXsr10test_utilsE35device_test_enabled_for_warp_size_vIXT2_EEEvE4typeEPT_PT0_S5_,"axG",@progbits,_Z33head_segmented_warp_reduce_kernelI6__halfhLj32ELj1EENSt9enable_ifIXsr10test_utilsE35device_test_enabled_for_warp_size_vIXT2_EEEvE4typeEPT_PT0_S5_,comdat
	.protected	_Z33head_segmented_warp_reduce_kernelI6__halfhLj32ELj1EENSt9enable_ifIXsr10test_utilsE35device_test_enabled_for_warp_size_vIXT2_EEEvE4typeEPT_PT0_S5_ ; -- Begin function _Z33head_segmented_warp_reduce_kernelI6__halfhLj32ELj1EENSt9enable_ifIXsr10test_utilsE35device_test_enabled_for_warp_size_vIXT2_EEEvE4typeEPT_PT0_S5_
	.globl	_Z33head_segmented_warp_reduce_kernelI6__halfhLj32ELj1EENSt9enable_ifIXsr10test_utilsE35device_test_enabled_for_warp_size_vIXT2_EEEvE4typeEPT_PT0_S5_
	.p2align	8
	.type	_Z33head_segmented_warp_reduce_kernelI6__halfhLj32ELj1EENSt9enable_ifIXsr10test_utilsE35device_test_enabled_for_warp_size_vIXT2_EEEvE4typeEPT_PT0_S5_,@function
_Z33head_segmented_warp_reduce_kernelI6__halfhLj32ELj1EENSt9enable_ifIXsr10test_utilsE35device_test_enabled_for_warp_size_vIXT2_EEEvE4typeEPT_PT0_S5_: ; @_Z33head_segmented_warp_reduce_kernelI6__halfhLj32ELj1EENSt9enable_ifIXsr10test_utilsE35device_test_enabled_for_warp_size_vIXT2_EEEvE4typeEPT_PT0_S5_
; %bb.0:
	s_clause 0x2
	s_load_b32 s4, s[0:1], 0x24
	s_load_b64 s[2:3], s[0:1], 0x0
	s_load_b64 s[0:1], s[0:1], 0x10
	s_waitcnt lgkmcnt(0)
	s_and_b32 s4, s4, 0xffff
	s_delay_alu instid0(SALU_CYCLE_1) | instskip(SKIP_1) | instid1(VALU_DEP_1)
	v_mad_u64_u32 v[1:2], null, s15, s4, v[0:1]
	v_mov_b32_e32 v2, 0
	v_lshlrev_b64 v[0:1], 1, v[1:2]
	s_delay_alu instid0(VALU_DEP_1) | instskip(NEXT) | instid1(VALU_DEP_2)
	v_add_co_u32 v2, vcc_lo, s2, v0
	v_add_co_ci_u32_e32 v3, vcc_lo, s3, v1, vcc_lo
	v_add_co_u32 v0, vcc_lo, s0, v0
	v_add_co_ci_u32_e32 v1, vcc_lo, s1, v1, vcc_lo
	global_load_u16 v2, v[2:3], off
	s_waitcnt vmcnt(0)
	global_store_b16 v[0:1], v2, off
	s_nop 0
	s_sendmsg sendmsg(MSG_DEALLOC_VGPRS)
	s_endpgm
	.section	.rodata,"a",@progbits
	.p2align	6, 0x0
	.amdhsa_kernel _Z33head_segmented_warp_reduce_kernelI6__halfhLj32ELj1EENSt9enable_ifIXsr10test_utilsE35device_test_enabled_for_warp_size_vIXT2_EEEvE4typeEPT_PT0_S5_
		.amdhsa_group_segment_fixed_size 0
		.amdhsa_private_segment_fixed_size 0
		.amdhsa_kernarg_size 280
		.amdhsa_user_sgpr_count 15
		.amdhsa_user_sgpr_dispatch_ptr 0
		.amdhsa_user_sgpr_queue_ptr 0
		.amdhsa_user_sgpr_kernarg_segment_ptr 1
		.amdhsa_user_sgpr_dispatch_id 0
		.amdhsa_user_sgpr_private_segment_size 0
		.amdhsa_wavefront_size32 1
		.amdhsa_uses_dynamic_stack 0
		.amdhsa_enable_private_segment 0
		.amdhsa_system_sgpr_workgroup_id_x 1
		.amdhsa_system_sgpr_workgroup_id_y 0
		.amdhsa_system_sgpr_workgroup_id_z 0
		.amdhsa_system_sgpr_workgroup_info 0
		.amdhsa_system_vgpr_workitem_id 0
		.amdhsa_next_free_vgpr 4
		.amdhsa_next_free_sgpr 16
		.amdhsa_reserve_vcc 1
		.amdhsa_float_round_mode_32 0
		.amdhsa_float_round_mode_16_64 0
		.amdhsa_float_denorm_mode_32 3
		.amdhsa_float_denorm_mode_16_64 3
		.amdhsa_dx10_clamp 1
		.amdhsa_ieee_mode 1
		.amdhsa_fp16_overflow 0
		.amdhsa_workgroup_processor_mode 1
		.amdhsa_memory_ordered 1
		.amdhsa_forward_progress 0
		.amdhsa_shared_vgpr_count 0
		.amdhsa_exception_fp_ieee_invalid_op 0
		.amdhsa_exception_fp_denorm_src 0
		.amdhsa_exception_fp_ieee_div_zero 0
		.amdhsa_exception_fp_ieee_overflow 0
		.amdhsa_exception_fp_ieee_underflow 0
		.amdhsa_exception_fp_ieee_inexact 0
		.amdhsa_exception_int_div_zero 0
	.end_amdhsa_kernel
	.section	.text._Z33head_segmented_warp_reduce_kernelI6__halfhLj32ELj1EENSt9enable_ifIXsr10test_utilsE35device_test_enabled_for_warp_size_vIXT2_EEEvE4typeEPT_PT0_S5_,"axG",@progbits,_Z33head_segmented_warp_reduce_kernelI6__halfhLj32ELj1EENSt9enable_ifIXsr10test_utilsE35device_test_enabled_for_warp_size_vIXT2_EEEvE4typeEPT_PT0_S5_,comdat
.Lfunc_end168:
	.size	_Z33head_segmented_warp_reduce_kernelI6__halfhLj32ELj1EENSt9enable_ifIXsr10test_utilsE35device_test_enabled_for_warp_size_vIXT2_EEEvE4typeEPT_PT0_S5_, .Lfunc_end168-_Z33head_segmented_warp_reduce_kernelI6__halfhLj32ELj1EENSt9enable_ifIXsr10test_utilsE35device_test_enabled_for_warp_size_vIXT2_EEEvE4typeEPT_PT0_S5_
                                        ; -- End function
	.section	.AMDGPU.csdata,"",@progbits
; Kernel info:
; codeLenInByte = 124
; NumSgprs: 18
; NumVgprs: 4
; ScratchSize: 0
; MemoryBound: 0
; FloatMode: 240
; IeeeMode: 1
; LDSByteSize: 0 bytes/workgroup (compile time only)
; SGPRBlocks: 2
; VGPRBlocks: 0
; NumSGPRsForWavesPerEU: 18
; NumVGPRsForWavesPerEU: 4
; Occupancy: 16
; WaveLimiterHint : 0
; COMPUTE_PGM_RSRC2:SCRATCH_EN: 0
; COMPUTE_PGM_RSRC2:USER_SGPR: 15
; COMPUTE_PGM_RSRC2:TRAP_HANDLER: 0
; COMPUTE_PGM_RSRC2:TGID_X_EN: 1
; COMPUTE_PGM_RSRC2:TGID_Y_EN: 0
; COMPUTE_PGM_RSRC2:TGID_Z_EN: 0
; COMPUTE_PGM_RSRC2:TIDIG_COMP_CNT: 0
	.section	.text._Z33head_segmented_warp_reduce_kernelI6__halfhLj64ELj1EENSt9enable_ifIXsr10test_utilsE35device_test_enabled_for_warp_size_vIXT2_EEEvE4typeEPT_PT0_S5_,"axG",@progbits,_Z33head_segmented_warp_reduce_kernelI6__halfhLj64ELj1EENSt9enable_ifIXsr10test_utilsE35device_test_enabled_for_warp_size_vIXT2_EEEvE4typeEPT_PT0_S5_,comdat
	.protected	_Z33head_segmented_warp_reduce_kernelI6__halfhLj64ELj1EENSt9enable_ifIXsr10test_utilsE35device_test_enabled_for_warp_size_vIXT2_EEEvE4typeEPT_PT0_S5_ ; -- Begin function _Z33head_segmented_warp_reduce_kernelI6__halfhLj64ELj1EENSt9enable_ifIXsr10test_utilsE35device_test_enabled_for_warp_size_vIXT2_EEEvE4typeEPT_PT0_S5_
	.globl	_Z33head_segmented_warp_reduce_kernelI6__halfhLj64ELj1EENSt9enable_ifIXsr10test_utilsE35device_test_enabled_for_warp_size_vIXT2_EEEvE4typeEPT_PT0_S5_
	.p2align	8
	.type	_Z33head_segmented_warp_reduce_kernelI6__halfhLj64ELj1EENSt9enable_ifIXsr10test_utilsE35device_test_enabled_for_warp_size_vIXT2_EEEvE4typeEPT_PT0_S5_,@function
_Z33head_segmented_warp_reduce_kernelI6__halfhLj64ELj1EENSt9enable_ifIXsr10test_utilsE35device_test_enabled_for_warp_size_vIXT2_EEEvE4typeEPT_PT0_S5_: ; @_Z33head_segmented_warp_reduce_kernelI6__halfhLj64ELj1EENSt9enable_ifIXsr10test_utilsE35device_test_enabled_for_warp_size_vIXT2_EEEvE4typeEPT_PT0_S5_
; %bb.0:
	s_clause 0x2
	s_load_b32 s4, s[0:1], 0x24
	s_load_b64 s[2:3], s[0:1], 0x0
	s_load_b64 s[0:1], s[0:1], 0x10
	s_waitcnt lgkmcnt(0)
	s_and_b32 s4, s4, 0xffff
	s_delay_alu instid0(SALU_CYCLE_1) | instskip(SKIP_1) | instid1(VALU_DEP_1)
	v_mad_u64_u32 v[1:2], null, s15, s4, v[0:1]
	v_mov_b32_e32 v2, 0
	v_lshlrev_b64 v[0:1], 1, v[1:2]
	s_delay_alu instid0(VALU_DEP_1) | instskip(NEXT) | instid1(VALU_DEP_2)
	v_add_co_u32 v2, vcc_lo, s2, v0
	v_add_co_ci_u32_e32 v3, vcc_lo, s3, v1, vcc_lo
	v_add_co_u32 v0, vcc_lo, s0, v0
	v_add_co_ci_u32_e32 v1, vcc_lo, s1, v1, vcc_lo
	global_load_u16 v2, v[2:3], off
	s_waitcnt vmcnt(0)
	global_store_b16 v[0:1], v2, off
	s_nop 0
	s_sendmsg sendmsg(MSG_DEALLOC_VGPRS)
	s_endpgm
	.section	.rodata,"a",@progbits
	.p2align	6, 0x0
	.amdhsa_kernel _Z33head_segmented_warp_reduce_kernelI6__halfhLj64ELj1EENSt9enable_ifIXsr10test_utilsE35device_test_enabled_for_warp_size_vIXT2_EEEvE4typeEPT_PT0_S5_
		.amdhsa_group_segment_fixed_size 0
		.amdhsa_private_segment_fixed_size 0
		.amdhsa_kernarg_size 280
		.amdhsa_user_sgpr_count 15
		.amdhsa_user_sgpr_dispatch_ptr 0
		.amdhsa_user_sgpr_queue_ptr 0
		.amdhsa_user_sgpr_kernarg_segment_ptr 1
		.amdhsa_user_sgpr_dispatch_id 0
		.amdhsa_user_sgpr_private_segment_size 0
		.amdhsa_wavefront_size32 1
		.amdhsa_uses_dynamic_stack 0
		.amdhsa_enable_private_segment 0
		.amdhsa_system_sgpr_workgroup_id_x 1
		.amdhsa_system_sgpr_workgroup_id_y 0
		.amdhsa_system_sgpr_workgroup_id_z 0
		.amdhsa_system_sgpr_workgroup_info 0
		.amdhsa_system_vgpr_workitem_id 0
		.amdhsa_next_free_vgpr 4
		.amdhsa_next_free_sgpr 16
		.amdhsa_reserve_vcc 1
		.amdhsa_float_round_mode_32 0
		.amdhsa_float_round_mode_16_64 0
		.amdhsa_float_denorm_mode_32 3
		.amdhsa_float_denorm_mode_16_64 3
		.amdhsa_dx10_clamp 1
		.amdhsa_ieee_mode 1
		.amdhsa_fp16_overflow 0
		.amdhsa_workgroup_processor_mode 1
		.amdhsa_memory_ordered 1
		.amdhsa_forward_progress 0
		.amdhsa_shared_vgpr_count 0
		.amdhsa_exception_fp_ieee_invalid_op 0
		.amdhsa_exception_fp_denorm_src 0
		.amdhsa_exception_fp_ieee_div_zero 0
		.amdhsa_exception_fp_ieee_overflow 0
		.amdhsa_exception_fp_ieee_underflow 0
		.amdhsa_exception_fp_ieee_inexact 0
		.amdhsa_exception_int_div_zero 0
	.end_amdhsa_kernel
	.section	.text._Z33head_segmented_warp_reduce_kernelI6__halfhLj64ELj1EENSt9enable_ifIXsr10test_utilsE35device_test_enabled_for_warp_size_vIXT2_EEEvE4typeEPT_PT0_S5_,"axG",@progbits,_Z33head_segmented_warp_reduce_kernelI6__halfhLj64ELj1EENSt9enable_ifIXsr10test_utilsE35device_test_enabled_for_warp_size_vIXT2_EEEvE4typeEPT_PT0_S5_,comdat
.Lfunc_end169:
	.size	_Z33head_segmented_warp_reduce_kernelI6__halfhLj64ELj1EENSt9enable_ifIXsr10test_utilsE35device_test_enabled_for_warp_size_vIXT2_EEEvE4typeEPT_PT0_S5_, .Lfunc_end169-_Z33head_segmented_warp_reduce_kernelI6__halfhLj64ELj1EENSt9enable_ifIXsr10test_utilsE35device_test_enabled_for_warp_size_vIXT2_EEEvE4typeEPT_PT0_S5_
                                        ; -- End function
	.section	.AMDGPU.csdata,"",@progbits
; Kernel info:
; codeLenInByte = 124
; NumSgprs: 18
; NumVgprs: 4
; ScratchSize: 0
; MemoryBound: 0
; FloatMode: 240
; IeeeMode: 1
; LDSByteSize: 0 bytes/workgroup (compile time only)
; SGPRBlocks: 2
; VGPRBlocks: 0
; NumSGPRsForWavesPerEU: 18
; NumVGPRsForWavesPerEU: 4
; Occupancy: 16
; WaveLimiterHint : 0
; COMPUTE_PGM_RSRC2:SCRATCH_EN: 0
; COMPUTE_PGM_RSRC2:USER_SGPR: 15
; COMPUTE_PGM_RSRC2:TRAP_HANDLER: 0
; COMPUTE_PGM_RSRC2:TGID_X_EN: 1
; COMPUTE_PGM_RSRC2:TGID_Y_EN: 0
; COMPUTE_PGM_RSRC2:TGID_Z_EN: 0
; COMPUTE_PGM_RSRC2:TIDIG_COMP_CNT: 0
	.section	.text._Z33head_segmented_warp_reduce_kernelIfhLj256ELj64EENSt9enable_ifIXntsr10test_utilsE35device_test_enabled_for_warp_size_vIXT2_EEEvE4typeEPT_PT0_S4_,"axG",@progbits,_Z33head_segmented_warp_reduce_kernelIfhLj256ELj64EENSt9enable_ifIXntsr10test_utilsE35device_test_enabled_for_warp_size_vIXT2_EEEvE4typeEPT_PT0_S4_,comdat
	.protected	_Z33head_segmented_warp_reduce_kernelIfhLj256ELj64EENSt9enable_ifIXntsr10test_utilsE35device_test_enabled_for_warp_size_vIXT2_EEEvE4typeEPT_PT0_S4_ ; -- Begin function _Z33head_segmented_warp_reduce_kernelIfhLj256ELj64EENSt9enable_ifIXntsr10test_utilsE35device_test_enabled_for_warp_size_vIXT2_EEEvE4typeEPT_PT0_S4_
	.globl	_Z33head_segmented_warp_reduce_kernelIfhLj256ELj64EENSt9enable_ifIXntsr10test_utilsE35device_test_enabled_for_warp_size_vIXT2_EEEvE4typeEPT_PT0_S4_
	.p2align	8
	.type	_Z33head_segmented_warp_reduce_kernelIfhLj256ELj64EENSt9enable_ifIXntsr10test_utilsE35device_test_enabled_for_warp_size_vIXT2_EEEvE4typeEPT_PT0_S4_,@function
_Z33head_segmented_warp_reduce_kernelIfhLj256ELj64EENSt9enable_ifIXntsr10test_utilsE35device_test_enabled_for_warp_size_vIXT2_EEEvE4typeEPT_PT0_S4_: ; @_Z33head_segmented_warp_reduce_kernelIfhLj256ELj64EENSt9enable_ifIXntsr10test_utilsE35device_test_enabled_for_warp_size_vIXT2_EEEvE4typeEPT_PT0_S4_
; %bb.0:
	s_endpgm
	.section	.rodata,"a",@progbits
	.p2align	6, 0x0
	.amdhsa_kernel _Z33head_segmented_warp_reduce_kernelIfhLj256ELj64EENSt9enable_ifIXntsr10test_utilsE35device_test_enabled_for_warp_size_vIXT2_EEEvE4typeEPT_PT0_S4_
		.amdhsa_group_segment_fixed_size 0
		.amdhsa_private_segment_fixed_size 0
		.amdhsa_kernarg_size 24
		.amdhsa_user_sgpr_count 15
		.amdhsa_user_sgpr_dispatch_ptr 0
		.amdhsa_user_sgpr_queue_ptr 0
		.amdhsa_user_sgpr_kernarg_segment_ptr 1
		.amdhsa_user_sgpr_dispatch_id 0
		.amdhsa_user_sgpr_private_segment_size 0
		.amdhsa_wavefront_size32 1
		.amdhsa_uses_dynamic_stack 0
		.amdhsa_enable_private_segment 0
		.amdhsa_system_sgpr_workgroup_id_x 1
		.amdhsa_system_sgpr_workgroup_id_y 0
		.amdhsa_system_sgpr_workgroup_id_z 0
		.amdhsa_system_sgpr_workgroup_info 0
		.amdhsa_system_vgpr_workitem_id 0
		.amdhsa_next_free_vgpr 1
		.amdhsa_next_free_sgpr 1
		.amdhsa_reserve_vcc 0
		.amdhsa_float_round_mode_32 0
		.amdhsa_float_round_mode_16_64 0
		.amdhsa_float_denorm_mode_32 3
		.amdhsa_float_denorm_mode_16_64 3
		.amdhsa_dx10_clamp 1
		.amdhsa_ieee_mode 1
		.amdhsa_fp16_overflow 0
		.amdhsa_workgroup_processor_mode 1
		.amdhsa_memory_ordered 1
		.amdhsa_forward_progress 0
		.amdhsa_shared_vgpr_count 0
		.amdhsa_exception_fp_ieee_invalid_op 0
		.amdhsa_exception_fp_denorm_src 0
		.amdhsa_exception_fp_ieee_div_zero 0
		.amdhsa_exception_fp_ieee_overflow 0
		.amdhsa_exception_fp_ieee_underflow 0
		.amdhsa_exception_fp_ieee_inexact 0
		.amdhsa_exception_int_div_zero 0
	.end_amdhsa_kernel
	.section	.text._Z33head_segmented_warp_reduce_kernelIfhLj256ELj64EENSt9enable_ifIXntsr10test_utilsE35device_test_enabled_for_warp_size_vIXT2_EEEvE4typeEPT_PT0_S4_,"axG",@progbits,_Z33head_segmented_warp_reduce_kernelIfhLj256ELj64EENSt9enable_ifIXntsr10test_utilsE35device_test_enabled_for_warp_size_vIXT2_EEEvE4typeEPT_PT0_S4_,comdat
.Lfunc_end170:
	.size	_Z33head_segmented_warp_reduce_kernelIfhLj256ELj64EENSt9enable_ifIXntsr10test_utilsE35device_test_enabled_for_warp_size_vIXT2_EEEvE4typeEPT_PT0_S4_, .Lfunc_end170-_Z33head_segmented_warp_reduce_kernelIfhLj256ELj64EENSt9enable_ifIXntsr10test_utilsE35device_test_enabled_for_warp_size_vIXT2_EEEvE4typeEPT_PT0_S4_
                                        ; -- End function
	.section	.AMDGPU.csdata,"",@progbits
; Kernel info:
; codeLenInByte = 4
; NumSgprs: 0
; NumVgprs: 0
; ScratchSize: 0
; MemoryBound: 0
; FloatMode: 240
; IeeeMode: 1
; LDSByteSize: 0 bytes/workgroup (compile time only)
; SGPRBlocks: 0
; VGPRBlocks: 0
; NumSGPRsForWavesPerEU: 1
; NumVGPRsForWavesPerEU: 1
; Occupancy: 16
; WaveLimiterHint : 0
; COMPUTE_PGM_RSRC2:SCRATCH_EN: 0
; COMPUTE_PGM_RSRC2:USER_SGPR: 15
; COMPUTE_PGM_RSRC2:TRAP_HANDLER: 0
; COMPUTE_PGM_RSRC2:TGID_X_EN: 1
; COMPUTE_PGM_RSRC2:TGID_Y_EN: 0
; COMPUTE_PGM_RSRC2:TGID_Z_EN: 0
; COMPUTE_PGM_RSRC2:TIDIG_COMP_CNT: 0
	.section	.text._Z33head_segmented_warp_reduce_kernelIfhLj128ELj32EENSt9enable_ifIXsr10test_utilsE35device_test_enabled_for_warp_size_vIXT2_EEEvE4typeEPT_PT0_S4_,"axG",@progbits,_Z33head_segmented_warp_reduce_kernelIfhLj128ELj32EENSt9enable_ifIXsr10test_utilsE35device_test_enabled_for_warp_size_vIXT2_EEEvE4typeEPT_PT0_S4_,comdat
	.protected	_Z33head_segmented_warp_reduce_kernelIfhLj128ELj32EENSt9enable_ifIXsr10test_utilsE35device_test_enabled_for_warp_size_vIXT2_EEEvE4typeEPT_PT0_S4_ ; -- Begin function _Z33head_segmented_warp_reduce_kernelIfhLj128ELj32EENSt9enable_ifIXsr10test_utilsE35device_test_enabled_for_warp_size_vIXT2_EEEvE4typeEPT_PT0_S4_
	.globl	_Z33head_segmented_warp_reduce_kernelIfhLj128ELj32EENSt9enable_ifIXsr10test_utilsE35device_test_enabled_for_warp_size_vIXT2_EEEvE4typeEPT_PT0_S4_
	.p2align	8
	.type	_Z33head_segmented_warp_reduce_kernelIfhLj128ELj32EENSt9enable_ifIXsr10test_utilsE35device_test_enabled_for_warp_size_vIXT2_EEEvE4typeEPT_PT0_S4_,@function
_Z33head_segmented_warp_reduce_kernelIfhLj128ELj32EENSt9enable_ifIXsr10test_utilsE35device_test_enabled_for_warp_size_vIXT2_EEEvE4typeEPT_PT0_S4_: ; @_Z33head_segmented_warp_reduce_kernelIfhLj128ELj32EENSt9enable_ifIXsr10test_utilsE35device_test_enabled_for_warp_size_vIXT2_EEEvE4typeEPT_PT0_S4_
; %bb.0:
	s_clause 0x2
	s_load_b32 s2, s[0:1], 0x24
	s_load_b128 s[4:7], s[0:1], 0x0
	s_load_b64 s[0:1], s[0:1], 0x10
	s_waitcnt lgkmcnt(0)
	s_and_b32 s2, s2, 0xffff
	s_delay_alu instid0(SALU_CYCLE_1) | instskip(SKIP_1) | instid1(VALU_DEP_1)
	v_mad_u64_u32 v[1:2], null, s15, s2, v[0:1]
	v_mov_b32_e32 v2, 0
	v_lshlrev_b64 v[2:3], 2, v[1:2]
	s_delay_alu instid0(VALU_DEP_1) | instskip(NEXT) | instid1(VALU_DEP_2)
	v_add_co_u32 v4, vcc_lo, s4, v2
	v_add_co_ci_u32_e32 v5, vcc_lo, s5, v3, vcc_lo
	global_load_b32 v0, v[4:5], off
	global_load_u8 v1, v1, s[6:7]
	v_mbcnt_lo_u32_b32 v4, -1, 0
	s_delay_alu instid0(VALU_DEP_1) | instskip(SKIP_2) | instid1(VALU_DEP_1)
	v_cmp_ne_u32_e32 vcc_lo, 31, v4
	v_add_nc_u32_e32 v7, 1, v4
	v_add_co_ci_u32_e32 v5, vcc_lo, 0, v4, vcc_lo
	v_lshlrev_b32_e32 v5, 2, v5
	s_waitcnt vmcnt(1)
	ds_bpermute_b32 v5, v5, v0
	s_waitcnt vmcnt(0)
	v_cmp_ne_u16_e32 vcc_lo, 0, v1
	v_lshlrev_b32_e64 v1, v4, -1
	s_lshr_b32 s2, vcc_lo, 1
	v_cmp_gt_u32_e32 vcc_lo, 30, v4
	s_delay_alu instid0(VALU_DEP_2) | instskip(SKIP_1) | instid1(VALU_DEP_2)
	v_and_or_b32 v1, v1, s2, 0x80000000
	v_cndmask_b32_e64 v6, 0, 1, vcc_lo
	v_ctz_i32_b32_e32 v1, v1
	s_delay_alu instid0(VALU_DEP_2) | instskip(NEXT) | instid1(VALU_DEP_2)
	v_lshlrev_b32_e32 v6, 1, v6
	v_cmp_gt_u32_e32 vcc_lo, v7, v1
	v_add_nc_u32_e32 v7, 2, v4
	s_waitcnt lgkmcnt(0)
	v_add_f32_e32 v5, v0, v5
	v_add_lshl_u32 v6, v6, v4, 2
	s_delay_alu instid0(VALU_DEP_2)
	v_cndmask_b32_e32 v0, v5, v0, vcc_lo
	v_cmp_gt_u32_e32 vcc_lo, 28, v4
	ds_bpermute_b32 v5, v6, v0
	v_cndmask_b32_e64 v6, 0, 1, vcc_lo
	v_cmp_gt_u32_e32 vcc_lo, v7, v1
	v_add_nc_u32_e32 v7, 4, v4
	s_waitcnt lgkmcnt(0)
	s_delay_alu instid0(VALU_DEP_3) | instskip(NEXT) | instid1(VALU_DEP_1)
	v_dual_add_f32 v5, v0, v5 :: v_dual_lshlrev_b32 v6, 2, v6
	v_add_lshl_u32 v6, v6, v4, 2
	s_delay_alu instid0(VALU_DEP_2)
	v_cndmask_b32_e32 v0, v5, v0, vcc_lo
	v_cmp_gt_u32_e32 vcc_lo, 24, v4
	ds_bpermute_b32 v5, v6, v0
	v_cndmask_b32_e64 v6, 0, 1, vcc_lo
	v_cmp_gt_u32_e32 vcc_lo, v7, v1
	v_add_nc_u32_e32 v7, 8, v4
	s_waitcnt lgkmcnt(0)
	s_delay_alu instid0(VALU_DEP_3) | instskip(NEXT) | instid1(VALU_DEP_1)
	v_dual_add_f32 v5, v0, v5 :: v_dual_lshlrev_b32 v6, 3, v6
	v_add_lshl_u32 v6, v6, v4, 2
	s_delay_alu instid0(VALU_DEP_2)
	v_cndmask_b32_e32 v0, v5, v0, vcc_lo
	v_cmp_gt_u32_e32 vcc_lo, 16, v4
	ds_bpermute_b32 v5, v6, v0
	v_cndmask_b32_e64 v6, 0, 1, vcc_lo
	v_cmp_gt_u32_e32 vcc_lo, v7, v1
	s_waitcnt lgkmcnt(0)
	s_delay_alu instid0(VALU_DEP_2) | instskip(NEXT) | instid1(VALU_DEP_1)
	v_dual_add_f32 v5, v0, v5 :: v_dual_lshlrev_b32 v6, 4, v6
	v_add_lshl_u32 v6, v6, v4, 2
	s_delay_alu instid0(VALU_DEP_2) | instskip(SKIP_3) | instid1(VALU_DEP_1)
	v_cndmask_b32_e32 v0, v5, v0, vcc_lo
	ds_bpermute_b32 v5, v6, v0
	s_waitcnt lgkmcnt(0)
	v_dual_add_f32 v5, v0, v5 :: v_dual_add_nc_u32 v4, 16, v4
	v_cmp_gt_u32_e32 vcc_lo, v4, v1
	s_delay_alu instid0(VALU_DEP_2)
	v_cndmask_b32_e32 v4, v5, v0, vcc_lo
	v_add_co_u32 v0, vcc_lo, s0, v2
	v_add_co_ci_u32_e32 v1, vcc_lo, s1, v3, vcc_lo
	global_store_b32 v[0:1], v4, off
	s_nop 0
	s_sendmsg sendmsg(MSG_DEALLOC_VGPRS)
	s_endpgm
	.section	.rodata,"a",@progbits
	.p2align	6, 0x0
	.amdhsa_kernel _Z33head_segmented_warp_reduce_kernelIfhLj128ELj32EENSt9enable_ifIXsr10test_utilsE35device_test_enabled_for_warp_size_vIXT2_EEEvE4typeEPT_PT0_S4_
		.amdhsa_group_segment_fixed_size 0
		.amdhsa_private_segment_fixed_size 0
		.amdhsa_kernarg_size 280
		.amdhsa_user_sgpr_count 15
		.amdhsa_user_sgpr_dispatch_ptr 0
		.amdhsa_user_sgpr_queue_ptr 0
		.amdhsa_user_sgpr_kernarg_segment_ptr 1
		.amdhsa_user_sgpr_dispatch_id 0
		.amdhsa_user_sgpr_private_segment_size 0
		.amdhsa_wavefront_size32 1
		.amdhsa_uses_dynamic_stack 0
		.amdhsa_enable_private_segment 0
		.amdhsa_system_sgpr_workgroup_id_x 1
		.amdhsa_system_sgpr_workgroup_id_y 0
		.amdhsa_system_sgpr_workgroup_id_z 0
		.amdhsa_system_sgpr_workgroup_info 0
		.amdhsa_system_vgpr_workitem_id 0
		.amdhsa_next_free_vgpr 8
		.amdhsa_next_free_sgpr 16
		.amdhsa_reserve_vcc 1
		.amdhsa_float_round_mode_32 0
		.amdhsa_float_round_mode_16_64 0
		.amdhsa_float_denorm_mode_32 3
		.amdhsa_float_denorm_mode_16_64 3
		.amdhsa_dx10_clamp 1
		.amdhsa_ieee_mode 1
		.amdhsa_fp16_overflow 0
		.amdhsa_workgroup_processor_mode 1
		.amdhsa_memory_ordered 1
		.amdhsa_forward_progress 0
		.amdhsa_shared_vgpr_count 0
		.amdhsa_exception_fp_ieee_invalid_op 0
		.amdhsa_exception_fp_denorm_src 0
		.amdhsa_exception_fp_ieee_div_zero 0
		.amdhsa_exception_fp_ieee_overflow 0
		.amdhsa_exception_fp_ieee_underflow 0
		.amdhsa_exception_fp_ieee_inexact 0
		.amdhsa_exception_int_div_zero 0
	.end_amdhsa_kernel
	.section	.text._Z33head_segmented_warp_reduce_kernelIfhLj128ELj32EENSt9enable_ifIXsr10test_utilsE35device_test_enabled_for_warp_size_vIXT2_EEEvE4typeEPT_PT0_S4_,"axG",@progbits,_Z33head_segmented_warp_reduce_kernelIfhLj128ELj32EENSt9enable_ifIXsr10test_utilsE35device_test_enabled_for_warp_size_vIXT2_EEEvE4typeEPT_PT0_S4_,comdat
.Lfunc_end171:
	.size	_Z33head_segmented_warp_reduce_kernelIfhLj128ELj32EENSt9enable_ifIXsr10test_utilsE35device_test_enabled_for_warp_size_vIXT2_EEEvE4typeEPT_PT0_S4_, .Lfunc_end171-_Z33head_segmented_warp_reduce_kernelIfhLj128ELj32EENSt9enable_ifIXsr10test_utilsE35device_test_enabled_for_warp_size_vIXT2_EEEvE4typeEPT_PT0_S4_
                                        ; -- End function
	.section	.AMDGPU.csdata,"",@progbits
; Kernel info:
; codeLenInByte = 468
; NumSgprs: 18
; NumVgprs: 8
; ScratchSize: 0
; MemoryBound: 0
; FloatMode: 240
; IeeeMode: 1
; LDSByteSize: 0 bytes/workgroup (compile time only)
; SGPRBlocks: 2
; VGPRBlocks: 0
; NumSGPRsForWavesPerEU: 18
; NumVGPRsForWavesPerEU: 8
; Occupancy: 16
; WaveLimiterHint : 0
; COMPUTE_PGM_RSRC2:SCRATCH_EN: 0
; COMPUTE_PGM_RSRC2:USER_SGPR: 15
; COMPUTE_PGM_RSRC2:TRAP_HANDLER: 0
; COMPUTE_PGM_RSRC2:TGID_X_EN: 1
; COMPUTE_PGM_RSRC2:TGID_Y_EN: 0
; COMPUTE_PGM_RSRC2:TGID_Z_EN: 0
; COMPUTE_PGM_RSRC2:TIDIG_COMP_CNT: 0
	.section	.text._Z33head_segmented_warp_reduce_kernelIfhLj64ELj16EENSt9enable_ifIXsr10test_utilsE35device_test_enabled_for_warp_size_vIXT2_EEEvE4typeEPT_PT0_S4_,"axG",@progbits,_Z33head_segmented_warp_reduce_kernelIfhLj64ELj16EENSt9enable_ifIXsr10test_utilsE35device_test_enabled_for_warp_size_vIXT2_EEEvE4typeEPT_PT0_S4_,comdat
	.protected	_Z33head_segmented_warp_reduce_kernelIfhLj64ELj16EENSt9enable_ifIXsr10test_utilsE35device_test_enabled_for_warp_size_vIXT2_EEEvE4typeEPT_PT0_S4_ ; -- Begin function _Z33head_segmented_warp_reduce_kernelIfhLj64ELj16EENSt9enable_ifIXsr10test_utilsE35device_test_enabled_for_warp_size_vIXT2_EEEvE4typeEPT_PT0_S4_
	.globl	_Z33head_segmented_warp_reduce_kernelIfhLj64ELj16EENSt9enable_ifIXsr10test_utilsE35device_test_enabled_for_warp_size_vIXT2_EEEvE4typeEPT_PT0_S4_
	.p2align	8
	.type	_Z33head_segmented_warp_reduce_kernelIfhLj64ELj16EENSt9enable_ifIXsr10test_utilsE35device_test_enabled_for_warp_size_vIXT2_EEEvE4typeEPT_PT0_S4_,@function
_Z33head_segmented_warp_reduce_kernelIfhLj64ELj16EENSt9enable_ifIXsr10test_utilsE35device_test_enabled_for_warp_size_vIXT2_EEEvE4typeEPT_PT0_S4_: ; @_Z33head_segmented_warp_reduce_kernelIfhLj64ELj16EENSt9enable_ifIXsr10test_utilsE35device_test_enabled_for_warp_size_vIXT2_EEEvE4typeEPT_PT0_S4_
; %bb.0:
	s_clause 0x1
	s_load_b32 s2, s[0:1], 0x24
	s_load_b128 s[4:7], s[0:1], 0x0
	s_waitcnt lgkmcnt(0)
	s_and_b32 s2, s2, 0xffff
	s_delay_alu instid0(SALU_CYCLE_1) | instskip(SKIP_2) | instid1(VALU_DEP_1)
	v_mad_u64_u32 v[1:2], null, s15, s2, v[0:1]
	v_mov_b32_e32 v2, 0
	s_load_b64 s[2:3], s[0:1], 0x10
	v_lshlrev_b64 v[2:3], 2, v[1:2]
	s_delay_alu instid0(VALU_DEP_1) | instskip(NEXT) | instid1(VALU_DEP_2)
	v_add_co_u32 v4, vcc_lo, s4, v2
	v_add_co_ci_u32_e32 v5, vcc_lo, s5, v3, vcc_lo
	global_load_u8 v0, v1, s[6:7]
	global_load_b32 v1, v[4:5], off
	v_mbcnt_lo_u32_b32 v4, -1, 0
	s_delay_alu instid0(VALU_DEP_1) | instskip(NEXT) | instid1(VALU_DEP_1)
	v_and_b32_e32 v5, 15, v4
	v_cmp_ne_u32_e32 vcc_lo, 15, v5
	v_add_nc_u32_e32 v9, 2, v5
	v_add_co_ci_u32_e32 v6, vcc_lo, 0, v4, vcc_lo
	s_delay_alu instid0(VALU_DEP_1)
	v_lshlrev_b32_e32 v6, 2, v6
	s_waitcnt vmcnt(1)
	v_cmp_ne_u16_e32 vcc_lo, 0, v0
	s_waitcnt vmcnt(0)
	ds_bpermute_b32 v6, v6, v1
	v_lshlrev_b32_e64 v0, v4, -1
	v_and_b32_e32 v7, 16, v4
	s_lshr_b32 s0, vcc_lo, 1
	v_cmp_gt_u32_e32 vcc_lo, 14, v5
	s_delay_alu instid0(VALU_DEP_3) | instskip(SKIP_1) | instid1(VALU_DEP_1)
	v_and_b32_e32 v0, s0, v0
	v_cmp_gt_u32_e64 s0, 12, v5
	v_cndmask_b32_e64 v8, 0, 1, s0
	s_waitcnt lgkmcnt(0)
	v_add_f32_e32 v6, v1, v6
	v_lshrrev_b32_e32 v0, v7, v0
	v_cndmask_b32_e64 v7, 0, 1, vcc_lo
	s_delay_alu instid0(VALU_DEP_2) | instskip(NEXT) | instid1(VALU_DEP_1)
	v_or_b32_e32 v0, 0x8000, v0
	v_ctz_i32_b32_e32 v0, v0
	s_delay_alu instid0(VALU_DEP_1) | instskip(NEXT) | instid1(VALU_DEP_4)
	v_cmp_lt_u32_e32 vcc_lo, v5, v0
	v_lshlrev_b32_e32 v7, 1, v7
	v_cmp_gt_u32_e64 s0, v9, v0
	v_dual_cndmask_b32 v6, v1, v6 :: v_dual_add_nc_u32 v9, 4, v5
	s_delay_alu instid0(VALU_DEP_3) | instskip(SKIP_3) | instid1(VALU_DEP_1)
	v_add_lshl_u32 v7, v7, v4, 2
	ds_bpermute_b32 v7, v7, v6
	s_waitcnt lgkmcnt(0)
	v_add_f32_e32 v7, v6, v7
	v_cndmask_b32_e64 v6, v7, v6, s0
	v_lshlrev_b32_e32 v8, 2, v8
	v_cmp_gt_u32_e64 s0, 8, v5
	v_add_nc_u32_e32 v5, 8, v5
	s_delay_alu instid0(VALU_DEP_4) | instskip(NEXT) | instid1(VALU_DEP_4)
	v_cndmask_b32_e32 v1, v1, v6, vcc_lo
	v_add_lshl_u32 v8, v8, v4, 2
	s_delay_alu instid0(VALU_DEP_3) | instskip(SKIP_3) | instid1(VALU_DEP_2)
	v_cmp_gt_u32_e32 vcc_lo, v5, v0
	ds_bpermute_b32 v7, v8, v6
	v_cndmask_b32_e64 v8, 0, 1, s0
	v_cmp_gt_u32_e64 s0, v9, v0
	v_lshlrev_b32_e32 v8, 3, v8
	s_delay_alu instid0(VALU_DEP_1) | instskip(SKIP_2) | instid1(VALU_DEP_1)
	v_add_lshl_u32 v4, v8, v4, 2
	s_waitcnt lgkmcnt(0)
	v_add_f32_e32 v7, v6, v7
	v_cndmask_b32_e64 v8, v7, v6, s0
	v_cndmask_b32_e64 v1, v7, v1, s0
	ds_bpermute_b32 v4, v4, v8
	s_waitcnt lgkmcnt(0)
	v_add_f32_e32 v4, v8, v4
	s_delay_alu instid0(VALU_DEP_1)
	v_cndmask_b32_e32 v4, v4, v1, vcc_lo
	v_add_co_u32 v0, vcc_lo, s2, v2
	v_add_co_ci_u32_e32 v1, vcc_lo, s3, v3, vcc_lo
	global_store_b32 v[0:1], v4, off
	s_nop 0
	s_sendmsg sendmsg(MSG_DEALLOC_VGPRS)
	s_endpgm
	.section	.rodata,"a",@progbits
	.p2align	6, 0x0
	.amdhsa_kernel _Z33head_segmented_warp_reduce_kernelIfhLj64ELj16EENSt9enable_ifIXsr10test_utilsE35device_test_enabled_for_warp_size_vIXT2_EEEvE4typeEPT_PT0_S4_
		.amdhsa_group_segment_fixed_size 0
		.amdhsa_private_segment_fixed_size 0
		.amdhsa_kernarg_size 280
		.amdhsa_user_sgpr_count 15
		.amdhsa_user_sgpr_dispatch_ptr 0
		.amdhsa_user_sgpr_queue_ptr 0
		.amdhsa_user_sgpr_kernarg_segment_ptr 1
		.amdhsa_user_sgpr_dispatch_id 0
		.amdhsa_user_sgpr_private_segment_size 0
		.amdhsa_wavefront_size32 1
		.amdhsa_uses_dynamic_stack 0
		.amdhsa_enable_private_segment 0
		.amdhsa_system_sgpr_workgroup_id_x 1
		.amdhsa_system_sgpr_workgroup_id_y 0
		.amdhsa_system_sgpr_workgroup_id_z 0
		.amdhsa_system_sgpr_workgroup_info 0
		.amdhsa_system_vgpr_workitem_id 0
		.amdhsa_next_free_vgpr 10
		.amdhsa_next_free_sgpr 16
		.amdhsa_reserve_vcc 1
		.amdhsa_float_round_mode_32 0
		.amdhsa_float_round_mode_16_64 0
		.amdhsa_float_denorm_mode_32 3
		.amdhsa_float_denorm_mode_16_64 3
		.amdhsa_dx10_clamp 1
		.amdhsa_ieee_mode 1
		.amdhsa_fp16_overflow 0
		.amdhsa_workgroup_processor_mode 1
		.amdhsa_memory_ordered 1
		.amdhsa_forward_progress 0
		.amdhsa_shared_vgpr_count 0
		.amdhsa_exception_fp_ieee_invalid_op 0
		.amdhsa_exception_fp_denorm_src 0
		.amdhsa_exception_fp_ieee_div_zero 0
		.amdhsa_exception_fp_ieee_overflow 0
		.amdhsa_exception_fp_ieee_underflow 0
		.amdhsa_exception_fp_ieee_inexact 0
		.amdhsa_exception_int_div_zero 0
	.end_amdhsa_kernel
	.section	.text._Z33head_segmented_warp_reduce_kernelIfhLj64ELj16EENSt9enable_ifIXsr10test_utilsE35device_test_enabled_for_warp_size_vIXT2_EEEvE4typeEPT_PT0_S4_,"axG",@progbits,_Z33head_segmented_warp_reduce_kernelIfhLj64ELj16EENSt9enable_ifIXsr10test_utilsE35device_test_enabled_for_warp_size_vIXT2_EEEvE4typeEPT_PT0_S4_,comdat
.Lfunc_end172:
	.size	_Z33head_segmented_warp_reduce_kernelIfhLj64ELj16EENSt9enable_ifIXsr10test_utilsE35device_test_enabled_for_warp_size_vIXT2_EEEvE4typeEPT_PT0_S4_, .Lfunc_end172-_Z33head_segmented_warp_reduce_kernelIfhLj64ELj16EENSt9enable_ifIXsr10test_utilsE35device_test_enabled_for_warp_size_vIXT2_EEEvE4typeEPT_PT0_S4_
                                        ; -- End function
	.section	.AMDGPU.csdata,"",@progbits
; Kernel info:
; codeLenInByte = 456
; NumSgprs: 18
; NumVgprs: 10
; ScratchSize: 0
; MemoryBound: 0
; FloatMode: 240
; IeeeMode: 1
; LDSByteSize: 0 bytes/workgroup (compile time only)
; SGPRBlocks: 2
; VGPRBlocks: 1
; NumSGPRsForWavesPerEU: 18
; NumVGPRsForWavesPerEU: 10
; Occupancy: 16
; WaveLimiterHint : 0
; COMPUTE_PGM_RSRC2:SCRATCH_EN: 0
; COMPUTE_PGM_RSRC2:USER_SGPR: 15
; COMPUTE_PGM_RSRC2:TRAP_HANDLER: 0
; COMPUTE_PGM_RSRC2:TGID_X_EN: 1
; COMPUTE_PGM_RSRC2:TGID_Y_EN: 0
; COMPUTE_PGM_RSRC2:TGID_Z_EN: 0
; COMPUTE_PGM_RSRC2:TIDIG_COMP_CNT: 0
	.section	.text._Z33head_segmented_warp_reduce_kernelIfhLj32ELj8EENSt9enable_ifIXsr10test_utilsE35device_test_enabled_for_warp_size_vIXT2_EEEvE4typeEPT_PT0_S4_,"axG",@progbits,_Z33head_segmented_warp_reduce_kernelIfhLj32ELj8EENSt9enable_ifIXsr10test_utilsE35device_test_enabled_for_warp_size_vIXT2_EEEvE4typeEPT_PT0_S4_,comdat
	.protected	_Z33head_segmented_warp_reduce_kernelIfhLj32ELj8EENSt9enable_ifIXsr10test_utilsE35device_test_enabled_for_warp_size_vIXT2_EEEvE4typeEPT_PT0_S4_ ; -- Begin function _Z33head_segmented_warp_reduce_kernelIfhLj32ELj8EENSt9enable_ifIXsr10test_utilsE35device_test_enabled_for_warp_size_vIXT2_EEEvE4typeEPT_PT0_S4_
	.globl	_Z33head_segmented_warp_reduce_kernelIfhLj32ELj8EENSt9enable_ifIXsr10test_utilsE35device_test_enabled_for_warp_size_vIXT2_EEEvE4typeEPT_PT0_S4_
	.p2align	8
	.type	_Z33head_segmented_warp_reduce_kernelIfhLj32ELj8EENSt9enable_ifIXsr10test_utilsE35device_test_enabled_for_warp_size_vIXT2_EEEvE4typeEPT_PT0_S4_,@function
_Z33head_segmented_warp_reduce_kernelIfhLj32ELj8EENSt9enable_ifIXsr10test_utilsE35device_test_enabled_for_warp_size_vIXT2_EEEvE4typeEPT_PT0_S4_: ; @_Z33head_segmented_warp_reduce_kernelIfhLj32ELj8EENSt9enable_ifIXsr10test_utilsE35device_test_enabled_for_warp_size_vIXT2_EEEvE4typeEPT_PT0_S4_
; %bb.0:
	s_clause 0x1
	s_load_b32 s2, s[0:1], 0x24
	s_load_b128 s[4:7], s[0:1], 0x0
	s_waitcnt lgkmcnt(0)
	s_and_b32 s2, s2, 0xffff
	s_delay_alu instid0(SALU_CYCLE_1) | instskip(SKIP_2) | instid1(VALU_DEP_1)
	v_mad_u64_u32 v[1:2], null, s15, s2, v[0:1]
	v_mov_b32_e32 v2, 0
	s_load_b64 s[2:3], s[0:1], 0x10
	v_lshlrev_b64 v[2:3], 2, v[1:2]
	s_delay_alu instid0(VALU_DEP_1) | instskip(NEXT) | instid1(VALU_DEP_2)
	v_add_co_u32 v4, vcc_lo, s4, v2
	v_add_co_ci_u32_e32 v5, vcc_lo, s5, v3, vcc_lo
	global_load_u8 v0, v1, s[6:7]
	global_load_b32 v1, v[4:5], off
	v_mbcnt_lo_u32_b32 v4, -1, 0
	s_delay_alu instid0(VALU_DEP_1) | instskip(NEXT) | instid1(VALU_DEP_1)
	v_and_b32_e32 v5, 7, v4
	v_cmp_ne_u32_e32 vcc_lo, 7, v5
	v_add_nc_u32_e32 v9, 2, v5
	v_add_co_ci_u32_e32 v6, vcc_lo, 0, v4, vcc_lo
	s_delay_alu instid0(VALU_DEP_1)
	v_lshlrev_b32_e32 v6, 2, v6
	s_waitcnt vmcnt(1)
	v_cmp_ne_u16_e32 vcc_lo, 0, v0
	s_waitcnt vmcnt(0)
	ds_bpermute_b32 v6, v6, v1
	v_lshlrev_b32_e64 v0, v4, -1
	v_and_b32_e32 v7, 24, v4
	s_lshr_b32 s0, vcc_lo, 1
	v_cmp_gt_u32_e32 vcc_lo, 6, v5
	s_delay_alu instid0(VALU_DEP_3) | instskip(SKIP_1) | instid1(VALU_DEP_1)
	v_and_b32_e32 v0, s0, v0
	v_cmp_gt_u32_e64 s0, 4, v5
	v_cndmask_b32_e64 v8, 0, 1, s0
	s_waitcnt lgkmcnt(0)
	v_add_f32_e32 v6, v1, v6
	v_lshrrev_b32_e32 v0, v7, v0
	v_cndmask_b32_e64 v7, 0, 1, vcc_lo
	s_delay_alu instid0(VALU_DEP_2) | instskip(NEXT) | instid1(VALU_DEP_1)
	v_or_b32_e32 v0, 0x80, v0
	v_ctz_i32_b32_e32 v0, v0
	s_delay_alu instid0(VALU_DEP_1) | instskip(NEXT) | instid1(VALU_DEP_4)
	v_cmp_lt_u32_e32 vcc_lo, v5, v0
	v_lshlrev_b32_e32 v7, 1, v7
	v_cmp_gt_u32_e64 s0, v9, v0
	v_dual_cndmask_b32 v6, v1, v6 :: v_dual_add_nc_u32 v5, 4, v5
	s_delay_alu instid0(VALU_DEP_3) | instskip(SKIP_3) | instid1(VALU_DEP_1)
	v_add_lshl_u32 v7, v7, v4, 2
	ds_bpermute_b32 v7, v7, v6
	s_waitcnt lgkmcnt(0)
	v_add_f32_e32 v7, v6, v7
	v_cndmask_b32_e64 v6, v7, v6, s0
	s_delay_alu instid0(VALU_DEP_1) | instskip(NEXT) | instid1(VALU_DEP_1)
	v_dual_cndmask_b32 v1, v1, v6 :: v_dual_lshlrev_b32 v8, 2, v8
	v_add_lshl_u32 v4, v8, v4, 2
	v_cmp_gt_u32_e32 vcc_lo, v5, v0
	ds_bpermute_b32 v4, v4, v6
	s_waitcnt lgkmcnt(0)
	v_add_f32_e32 v4, v6, v4
	s_delay_alu instid0(VALU_DEP_1)
	v_cndmask_b32_e32 v4, v4, v1, vcc_lo
	v_add_co_u32 v0, vcc_lo, s2, v2
	v_add_co_ci_u32_e32 v1, vcc_lo, s3, v3, vcc_lo
	global_store_b32 v[0:1], v4, off
	s_nop 0
	s_sendmsg sendmsg(MSG_DEALLOC_VGPRS)
	s_endpgm
	.section	.rodata,"a",@progbits
	.p2align	6, 0x0
	.amdhsa_kernel _Z33head_segmented_warp_reduce_kernelIfhLj32ELj8EENSt9enable_ifIXsr10test_utilsE35device_test_enabled_for_warp_size_vIXT2_EEEvE4typeEPT_PT0_S4_
		.amdhsa_group_segment_fixed_size 0
		.amdhsa_private_segment_fixed_size 0
		.amdhsa_kernarg_size 280
		.amdhsa_user_sgpr_count 15
		.amdhsa_user_sgpr_dispatch_ptr 0
		.amdhsa_user_sgpr_queue_ptr 0
		.amdhsa_user_sgpr_kernarg_segment_ptr 1
		.amdhsa_user_sgpr_dispatch_id 0
		.amdhsa_user_sgpr_private_segment_size 0
		.amdhsa_wavefront_size32 1
		.amdhsa_uses_dynamic_stack 0
		.amdhsa_enable_private_segment 0
		.amdhsa_system_sgpr_workgroup_id_x 1
		.amdhsa_system_sgpr_workgroup_id_y 0
		.amdhsa_system_sgpr_workgroup_id_z 0
		.amdhsa_system_sgpr_workgroup_info 0
		.amdhsa_system_vgpr_workitem_id 0
		.amdhsa_next_free_vgpr 10
		.amdhsa_next_free_sgpr 16
		.amdhsa_reserve_vcc 1
		.amdhsa_float_round_mode_32 0
		.amdhsa_float_round_mode_16_64 0
		.amdhsa_float_denorm_mode_32 3
		.amdhsa_float_denorm_mode_16_64 3
		.amdhsa_dx10_clamp 1
		.amdhsa_ieee_mode 1
		.amdhsa_fp16_overflow 0
		.amdhsa_workgroup_processor_mode 1
		.amdhsa_memory_ordered 1
		.amdhsa_forward_progress 0
		.amdhsa_shared_vgpr_count 0
		.amdhsa_exception_fp_ieee_invalid_op 0
		.amdhsa_exception_fp_denorm_src 0
		.amdhsa_exception_fp_ieee_div_zero 0
		.amdhsa_exception_fp_ieee_overflow 0
		.amdhsa_exception_fp_ieee_underflow 0
		.amdhsa_exception_fp_ieee_inexact 0
		.amdhsa_exception_int_div_zero 0
	.end_amdhsa_kernel
	.section	.text._Z33head_segmented_warp_reduce_kernelIfhLj32ELj8EENSt9enable_ifIXsr10test_utilsE35device_test_enabled_for_warp_size_vIXT2_EEEvE4typeEPT_PT0_S4_,"axG",@progbits,_Z33head_segmented_warp_reduce_kernelIfhLj32ELj8EENSt9enable_ifIXsr10test_utilsE35device_test_enabled_for_warp_size_vIXT2_EEEvE4typeEPT_PT0_S4_,comdat
.Lfunc_end173:
	.size	_Z33head_segmented_warp_reduce_kernelIfhLj32ELj8EENSt9enable_ifIXsr10test_utilsE35device_test_enabled_for_warp_size_vIXT2_EEEvE4typeEPT_PT0_S4_, .Lfunc_end173-_Z33head_segmented_warp_reduce_kernelIfhLj32ELj8EENSt9enable_ifIXsr10test_utilsE35device_test_enabled_for_warp_size_vIXT2_EEEvE4typeEPT_PT0_S4_
                                        ; -- End function
	.section	.AMDGPU.csdata,"",@progbits
; Kernel info:
; codeLenInByte = 376
; NumSgprs: 18
; NumVgprs: 10
; ScratchSize: 0
; MemoryBound: 0
; FloatMode: 240
; IeeeMode: 1
; LDSByteSize: 0 bytes/workgroup (compile time only)
; SGPRBlocks: 2
; VGPRBlocks: 1
; NumSGPRsForWavesPerEU: 18
; NumVGPRsForWavesPerEU: 10
; Occupancy: 16
; WaveLimiterHint : 0
; COMPUTE_PGM_RSRC2:SCRATCH_EN: 0
; COMPUTE_PGM_RSRC2:USER_SGPR: 15
; COMPUTE_PGM_RSRC2:TRAP_HANDLER: 0
; COMPUTE_PGM_RSRC2:TGID_X_EN: 1
; COMPUTE_PGM_RSRC2:TGID_Y_EN: 0
; COMPUTE_PGM_RSRC2:TGID_Z_EN: 0
; COMPUTE_PGM_RSRC2:TIDIG_COMP_CNT: 0
	.section	.text._Z33head_segmented_warp_reduce_kernelIfhLj64ELj8EENSt9enable_ifIXsr10test_utilsE35device_test_enabled_for_warp_size_vIXT2_EEEvE4typeEPT_PT0_S4_,"axG",@progbits,_Z33head_segmented_warp_reduce_kernelIfhLj64ELj8EENSt9enable_ifIXsr10test_utilsE35device_test_enabled_for_warp_size_vIXT2_EEEvE4typeEPT_PT0_S4_,comdat
	.protected	_Z33head_segmented_warp_reduce_kernelIfhLj64ELj8EENSt9enable_ifIXsr10test_utilsE35device_test_enabled_for_warp_size_vIXT2_EEEvE4typeEPT_PT0_S4_ ; -- Begin function _Z33head_segmented_warp_reduce_kernelIfhLj64ELj8EENSt9enable_ifIXsr10test_utilsE35device_test_enabled_for_warp_size_vIXT2_EEEvE4typeEPT_PT0_S4_
	.globl	_Z33head_segmented_warp_reduce_kernelIfhLj64ELj8EENSt9enable_ifIXsr10test_utilsE35device_test_enabled_for_warp_size_vIXT2_EEEvE4typeEPT_PT0_S4_
	.p2align	8
	.type	_Z33head_segmented_warp_reduce_kernelIfhLj64ELj8EENSt9enable_ifIXsr10test_utilsE35device_test_enabled_for_warp_size_vIXT2_EEEvE4typeEPT_PT0_S4_,@function
_Z33head_segmented_warp_reduce_kernelIfhLj64ELj8EENSt9enable_ifIXsr10test_utilsE35device_test_enabled_for_warp_size_vIXT2_EEEvE4typeEPT_PT0_S4_: ; @_Z33head_segmented_warp_reduce_kernelIfhLj64ELj8EENSt9enable_ifIXsr10test_utilsE35device_test_enabled_for_warp_size_vIXT2_EEEvE4typeEPT_PT0_S4_
; %bb.0:
	s_clause 0x1
	s_load_b32 s2, s[0:1], 0x24
	s_load_b128 s[4:7], s[0:1], 0x0
	s_waitcnt lgkmcnt(0)
	s_and_b32 s2, s2, 0xffff
	s_delay_alu instid0(SALU_CYCLE_1) | instskip(SKIP_2) | instid1(VALU_DEP_1)
	v_mad_u64_u32 v[1:2], null, s15, s2, v[0:1]
	v_mov_b32_e32 v2, 0
	s_load_b64 s[2:3], s[0:1], 0x10
	v_lshlrev_b64 v[2:3], 2, v[1:2]
	s_delay_alu instid0(VALU_DEP_1) | instskip(NEXT) | instid1(VALU_DEP_2)
	v_add_co_u32 v4, vcc_lo, s4, v2
	v_add_co_ci_u32_e32 v5, vcc_lo, s5, v3, vcc_lo
	global_load_u8 v0, v1, s[6:7]
	global_load_b32 v1, v[4:5], off
	v_mbcnt_lo_u32_b32 v4, -1, 0
	s_delay_alu instid0(VALU_DEP_1) | instskip(NEXT) | instid1(VALU_DEP_1)
	v_and_b32_e32 v5, 7, v4
	v_cmp_ne_u32_e32 vcc_lo, 7, v5
	v_add_nc_u32_e32 v9, 2, v5
	v_add_co_ci_u32_e32 v6, vcc_lo, 0, v4, vcc_lo
	s_delay_alu instid0(VALU_DEP_1)
	v_lshlrev_b32_e32 v6, 2, v6
	s_waitcnt vmcnt(1)
	v_cmp_ne_u16_e32 vcc_lo, 0, v0
	s_waitcnt vmcnt(0)
	ds_bpermute_b32 v6, v6, v1
	v_lshlrev_b32_e64 v0, v4, -1
	v_and_b32_e32 v7, 24, v4
	s_lshr_b32 s0, vcc_lo, 1
	v_cmp_gt_u32_e32 vcc_lo, 6, v5
	s_delay_alu instid0(VALU_DEP_3) | instskip(SKIP_1) | instid1(VALU_DEP_1)
	v_and_b32_e32 v0, s0, v0
	v_cmp_gt_u32_e64 s0, 4, v5
	v_cndmask_b32_e64 v8, 0, 1, s0
	s_waitcnt lgkmcnt(0)
	v_add_f32_e32 v6, v1, v6
	v_lshrrev_b32_e32 v0, v7, v0
	v_cndmask_b32_e64 v7, 0, 1, vcc_lo
	s_delay_alu instid0(VALU_DEP_2) | instskip(NEXT) | instid1(VALU_DEP_1)
	v_or_b32_e32 v0, 0x80, v0
	v_ctz_i32_b32_e32 v0, v0
	s_delay_alu instid0(VALU_DEP_1) | instskip(NEXT) | instid1(VALU_DEP_4)
	v_cmp_lt_u32_e32 vcc_lo, v5, v0
	v_lshlrev_b32_e32 v7, 1, v7
	v_cmp_gt_u32_e64 s0, v9, v0
	v_dual_cndmask_b32 v6, v1, v6 :: v_dual_add_nc_u32 v5, 4, v5
	s_delay_alu instid0(VALU_DEP_3) | instskip(SKIP_3) | instid1(VALU_DEP_1)
	v_add_lshl_u32 v7, v7, v4, 2
	ds_bpermute_b32 v7, v7, v6
	s_waitcnt lgkmcnt(0)
	v_add_f32_e32 v7, v6, v7
	v_cndmask_b32_e64 v6, v7, v6, s0
	s_delay_alu instid0(VALU_DEP_1) | instskip(NEXT) | instid1(VALU_DEP_1)
	v_dual_cndmask_b32 v1, v1, v6 :: v_dual_lshlrev_b32 v8, 2, v8
	v_add_lshl_u32 v4, v8, v4, 2
	v_cmp_gt_u32_e32 vcc_lo, v5, v0
	ds_bpermute_b32 v4, v4, v6
	s_waitcnt lgkmcnt(0)
	v_add_f32_e32 v4, v6, v4
	s_delay_alu instid0(VALU_DEP_1)
	v_cndmask_b32_e32 v4, v4, v1, vcc_lo
	v_add_co_u32 v0, vcc_lo, s2, v2
	v_add_co_ci_u32_e32 v1, vcc_lo, s3, v3, vcc_lo
	global_store_b32 v[0:1], v4, off
	s_nop 0
	s_sendmsg sendmsg(MSG_DEALLOC_VGPRS)
	s_endpgm
	.section	.rodata,"a",@progbits
	.p2align	6, 0x0
	.amdhsa_kernel _Z33head_segmented_warp_reduce_kernelIfhLj64ELj8EENSt9enable_ifIXsr10test_utilsE35device_test_enabled_for_warp_size_vIXT2_EEEvE4typeEPT_PT0_S4_
		.amdhsa_group_segment_fixed_size 0
		.amdhsa_private_segment_fixed_size 0
		.amdhsa_kernarg_size 280
		.amdhsa_user_sgpr_count 15
		.amdhsa_user_sgpr_dispatch_ptr 0
		.amdhsa_user_sgpr_queue_ptr 0
		.amdhsa_user_sgpr_kernarg_segment_ptr 1
		.amdhsa_user_sgpr_dispatch_id 0
		.amdhsa_user_sgpr_private_segment_size 0
		.amdhsa_wavefront_size32 1
		.amdhsa_uses_dynamic_stack 0
		.amdhsa_enable_private_segment 0
		.amdhsa_system_sgpr_workgroup_id_x 1
		.amdhsa_system_sgpr_workgroup_id_y 0
		.amdhsa_system_sgpr_workgroup_id_z 0
		.amdhsa_system_sgpr_workgroup_info 0
		.amdhsa_system_vgpr_workitem_id 0
		.amdhsa_next_free_vgpr 10
		.amdhsa_next_free_sgpr 16
		.amdhsa_reserve_vcc 1
		.amdhsa_float_round_mode_32 0
		.amdhsa_float_round_mode_16_64 0
		.amdhsa_float_denorm_mode_32 3
		.amdhsa_float_denorm_mode_16_64 3
		.amdhsa_dx10_clamp 1
		.amdhsa_ieee_mode 1
		.amdhsa_fp16_overflow 0
		.amdhsa_workgroup_processor_mode 1
		.amdhsa_memory_ordered 1
		.amdhsa_forward_progress 0
		.amdhsa_shared_vgpr_count 0
		.amdhsa_exception_fp_ieee_invalid_op 0
		.amdhsa_exception_fp_denorm_src 0
		.amdhsa_exception_fp_ieee_div_zero 0
		.amdhsa_exception_fp_ieee_overflow 0
		.amdhsa_exception_fp_ieee_underflow 0
		.amdhsa_exception_fp_ieee_inexact 0
		.amdhsa_exception_int_div_zero 0
	.end_amdhsa_kernel
	.section	.text._Z33head_segmented_warp_reduce_kernelIfhLj64ELj8EENSt9enable_ifIXsr10test_utilsE35device_test_enabled_for_warp_size_vIXT2_EEEvE4typeEPT_PT0_S4_,"axG",@progbits,_Z33head_segmented_warp_reduce_kernelIfhLj64ELj8EENSt9enable_ifIXsr10test_utilsE35device_test_enabled_for_warp_size_vIXT2_EEEvE4typeEPT_PT0_S4_,comdat
.Lfunc_end174:
	.size	_Z33head_segmented_warp_reduce_kernelIfhLj64ELj8EENSt9enable_ifIXsr10test_utilsE35device_test_enabled_for_warp_size_vIXT2_EEEvE4typeEPT_PT0_S4_, .Lfunc_end174-_Z33head_segmented_warp_reduce_kernelIfhLj64ELj8EENSt9enable_ifIXsr10test_utilsE35device_test_enabled_for_warp_size_vIXT2_EEEvE4typeEPT_PT0_S4_
                                        ; -- End function
	.section	.AMDGPU.csdata,"",@progbits
; Kernel info:
; codeLenInByte = 376
; NumSgprs: 18
; NumVgprs: 10
; ScratchSize: 0
; MemoryBound: 0
; FloatMode: 240
; IeeeMode: 1
; LDSByteSize: 0 bytes/workgroup (compile time only)
; SGPRBlocks: 2
; VGPRBlocks: 1
; NumSGPRsForWavesPerEU: 18
; NumVGPRsForWavesPerEU: 10
; Occupancy: 16
; WaveLimiterHint : 0
; COMPUTE_PGM_RSRC2:SCRATCH_EN: 0
; COMPUTE_PGM_RSRC2:USER_SGPR: 15
; COMPUTE_PGM_RSRC2:TRAP_HANDLER: 0
; COMPUTE_PGM_RSRC2:TGID_X_EN: 1
; COMPUTE_PGM_RSRC2:TGID_Y_EN: 0
; COMPUTE_PGM_RSRC2:TGID_Z_EN: 0
; COMPUTE_PGM_RSRC2:TIDIG_COMP_CNT: 0
	.section	.text._Z33head_segmented_warp_reduce_kernelIfhLj32ELj4EENSt9enable_ifIXsr10test_utilsE35device_test_enabled_for_warp_size_vIXT2_EEEvE4typeEPT_PT0_S4_,"axG",@progbits,_Z33head_segmented_warp_reduce_kernelIfhLj32ELj4EENSt9enable_ifIXsr10test_utilsE35device_test_enabled_for_warp_size_vIXT2_EEEvE4typeEPT_PT0_S4_,comdat
	.protected	_Z33head_segmented_warp_reduce_kernelIfhLj32ELj4EENSt9enable_ifIXsr10test_utilsE35device_test_enabled_for_warp_size_vIXT2_EEEvE4typeEPT_PT0_S4_ ; -- Begin function _Z33head_segmented_warp_reduce_kernelIfhLj32ELj4EENSt9enable_ifIXsr10test_utilsE35device_test_enabled_for_warp_size_vIXT2_EEEvE4typeEPT_PT0_S4_
	.globl	_Z33head_segmented_warp_reduce_kernelIfhLj32ELj4EENSt9enable_ifIXsr10test_utilsE35device_test_enabled_for_warp_size_vIXT2_EEEvE4typeEPT_PT0_S4_
	.p2align	8
	.type	_Z33head_segmented_warp_reduce_kernelIfhLj32ELj4EENSt9enable_ifIXsr10test_utilsE35device_test_enabled_for_warp_size_vIXT2_EEEvE4typeEPT_PT0_S4_,@function
_Z33head_segmented_warp_reduce_kernelIfhLj32ELj4EENSt9enable_ifIXsr10test_utilsE35device_test_enabled_for_warp_size_vIXT2_EEEvE4typeEPT_PT0_S4_: ; @_Z33head_segmented_warp_reduce_kernelIfhLj32ELj4EENSt9enable_ifIXsr10test_utilsE35device_test_enabled_for_warp_size_vIXT2_EEEvE4typeEPT_PT0_S4_
; %bb.0:
	s_clause 0x1
	s_load_b32 s2, s[0:1], 0x24
	s_load_b128 s[4:7], s[0:1], 0x0
	s_waitcnt lgkmcnt(0)
	s_and_b32 s2, s2, 0xffff
	s_delay_alu instid0(SALU_CYCLE_1) | instskip(SKIP_2) | instid1(VALU_DEP_1)
	v_mad_u64_u32 v[1:2], null, s15, s2, v[0:1]
	v_mov_b32_e32 v2, 0
	s_load_b64 s[2:3], s[0:1], 0x10
	v_lshlrev_b64 v[2:3], 2, v[1:2]
	s_delay_alu instid0(VALU_DEP_1) | instskip(NEXT) | instid1(VALU_DEP_2)
	v_add_co_u32 v4, vcc_lo, s4, v2
	v_add_co_ci_u32_e32 v5, vcc_lo, s5, v3, vcc_lo
	global_load_u8 v0, v1, s[6:7]
	global_load_b32 v1, v[4:5], off
	v_mbcnt_lo_u32_b32 v4, -1, 0
	s_delay_alu instid0(VALU_DEP_1) | instskip(NEXT) | instid1(VALU_DEP_1)
	v_and_b32_e32 v5, 3, v4
	v_cmp_ne_u32_e32 vcc_lo, 3, v5
	v_add_co_ci_u32_e32 v6, vcc_lo, 0, v4, vcc_lo
	s_delay_alu instid0(VALU_DEP_1)
	v_lshlrev_b32_e32 v6, 2, v6
	s_waitcnt vmcnt(1)
	v_cmp_ne_u16_e32 vcc_lo, 0, v0
	s_waitcnt vmcnt(0)
	ds_bpermute_b32 v6, v6, v1
	v_lshlrev_b32_e64 v0, v4, -1
	v_and_b32_e32 v7, 28, v4
	s_lshr_b32 s0, vcc_lo, 1
	v_cmp_gt_u32_e32 vcc_lo, 2, v5
	s_delay_alu instid0(VALU_DEP_3) | instskip(SKIP_2) | instid1(VALU_DEP_2)
	v_and_b32_e32 v0, s0, v0
	s_waitcnt lgkmcnt(0)
	v_add_f32_e32 v6, v1, v6
	v_lshrrev_b32_e32 v0, v7, v0
	v_cndmask_b32_e64 v7, 0, 1, vcc_lo
	s_delay_alu instid0(VALU_DEP_2) | instskip(NEXT) | instid1(VALU_DEP_1)
	v_or_b32_e32 v0, 8, v0
	v_ctz_i32_b32_e32 v0, v0
	s_delay_alu instid0(VALU_DEP_1) | instskip(NEXT) | instid1(VALU_DEP_4)
	v_cmp_lt_u32_e32 vcc_lo, v5, v0
	v_dual_cndmask_b32 v6, v1, v6 :: v_dual_lshlrev_b32 v7, 1, v7
	s_delay_alu instid0(VALU_DEP_1) | instskip(SKIP_3) | instid1(VALU_DEP_1)
	v_add_lshl_u32 v4, v7, v4, 2
	ds_bpermute_b32 v4, v4, v6
	s_waitcnt lgkmcnt(0)
	v_dual_add_f32 v4, v6, v4 :: v_dual_add_nc_u32 v5, 2, v5
	v_cmp_gt_u32_e64 s0, v5, v0
	s_delay_alu instid0(VALU_DEP_1) | instskip(NEXT) | instid1(VALU_DEP_1)
	v_cndmask_b32_e64 v0, v4, v6, s0
	v_cndmask_b32_e32 v4, v1, v0, vcc_lo
	v_add_co_u32 v0, vcc_lo, s2, v2
	v_add_co_ci_u32_e32 v1, vcc_lo, s3, v3, vcc_lo
	global_store_b32 v[0:1], v4, off
	s_nop 0
	s_sendmsg sendmsg(MSG_DEALLOC_VGPRS)
	s_endpgm
	.section	.rodata,"a",@progbits
	.p2align	6, 0x0
	.amdhsa_kernel _Z33head_segmented_warp_reduce_kernelIfhLj32ELj4EENSt9enable_ifIXsr10test_utilsE35device_test_enabled_for_warp_size_vIXT2_EEEvE4typeEPT_PT0_S4_
		.amdhsa_group_segment_fixed_size 0
		.amdhsa_private_segment_fixed_size 0
		.amdhsa_kernarg_size 280
		.amdhsa_user_sgpr_count 15
		.amdhsa_user_sgpr_dispatch_ptr 0
		.amdhsa_user_sgpr_queue_ptr 0
		.amdhsa_user_sgpr_kernarg_segment_ptr 1
		.amdhsa_user_sgpr_dispatch_id 0
		.amdhsa_user_sgpr_private_segment_size 0
		.amdhsa_wavefront_size32 1
		.amdhsa_uses_dynamic_stack 0
		.amdhsa_enable_private_segment 0
		.amdhsa_system_sgpr_workgroup_id_x 1
		.amdhsa_system_sgpr_workgroup_id_y 0
		.amdhsa_system_sgpr_workgroup_id_z 0
		.amdhsa_system_sgpr_workgroup_info 0
		.amdhsa_system_vgpr_workitem_id 0
		.amdhsa_next_free_vgpr 8
		.amdhsa_next_free_sgpr 16
		.amdhsa_reserve_vcc 1
		.amdhsa_float_round_mode_32 0
		.amdhsa_float_round_mode_16_64 0
		.amdhsa_float_denorm_mode_32 3
		.amdhsa_float_denorm_mode_16_64 3
		.amdhsa_dx10_clamp 1
		.amdhsa_ieee_mode 1
		.amdhsa_fp16_overflow 0
		.amdhsa_workgroup_processor_mode 1
		.amdhsa_memory_ordered 1
		.amdhsa_forward_progress 0
		.amdhsa_shared_vgpr_count 0
		.amdhsa_exception_fp_ieee_invalid_op 0
		.amdhsa_exception_fp_denorm_src 0
		.amdhsa_exception_fp_ieee_div_zero 0
		.amdhsa_exception_fp_ieee_overflow 0
		.amdhsa_exception_fp_ieee_underflow 0
		.amdhsa_exception_fp_ieee_inexact 0
		.amdhsa_exception_int_div_zero 0
	.end_amdhsa_kernel
	.section	.text._Z33head_segmented_warp_reduce_kernelIfhLj32ELj4EENSt9enable_ifIXsr10test_utilsE35device_test_enabled_for_warp_size_vIXT2_EEEvE4typeEPT_PT0_S4_,"axG",@progbits,_Z33head_segmented_warp_reduce_kernelIfhLj32ELj4EENSt9enable_ifIXsr10test_utilsE35device_test_enabled_for_warp_size_vIXT2_EEEvE4typeEPT_PT0_S4_,comdat
.Lfunc_end175:
	.size	_Z33head_segmented_warp_reduce_kernelIfhLj32ELj4EENSt9enable_ifIXsr10test_utilsE35device_test_enabled_for_warp_size_vIXT2_EEEvE4typeEPT_PT0_S4_, .Lfunc_end175-_Z33head_segmented_warp_reduce_kernelIfhLj32ELj4EENSt9enable_ifIXsr10test_utilsE35device_test_enabled_for_warp_size_vIXT2_EEEvE4typeEPT_PT0_S4_
                                        ; -- End function
	.section	.AMDGPU.csdata,"",@progbits
; Kernel info:
; codeLenInByte = 312
; NumSgprs: 18
; NumVgprs: 8
; ScratchSize: 0
; MemoryBound: 0
; FloatMode: 240
; IeeeMode: 1
; LDSByteSize: 0 bytes/workgroup (compile time only)
; SGPRBlocks: 2
; VGPRBlocks: 0
; NumSGPRsForWavesPerEU: 18
; NumVGPRsForWavesPerEU: 8
; Occupancy: 16
; WaveLimiterHint : 0
; COMPUTE_PGM_RSRC2:SCRATCH_EN: 0
; COMPUTE_PGM_RSRC2:USER_SGPR: 15
; COMPUTE_PGM_RSRC2:TRAP_HANDLER: 0
; COMPUTE_PGM_RSRC2:TGID_X_EN: 1
; COMPUTE_PGM_RSRC2:TGID_Y_EN: 0
; COMPUTE_PGM_RSRC2:TGID_Z_EN: 0
; COMPUTE_PGM_RSRC2:TIDIG_COMP_CNT: 0
	.section	.text._Z33head_segmented_warp_reduce_kernelIfhLj64ELj4EENSt9enable_ifIXsr10test_utilsE35device_test_enabled_for_warp_size_vIXT2_EEEvE4typeEPT_PT0_S4_,"axG",@progbits,_Z33head_segmented_warp_reduce_kernelIfhLj64ELj4EENSt9enable_ifIXsr10test_utilsE35device_test_enabled_for_warp_size_vIXT2_EEEvE4typeEPT_PT0_S4_,comdat
	.protected	_Z33head_segmented_warp_reduce_kernelIfhLj64ELj4EENSt9enable_ifIXsr10test_utilsE35device_test_enabled_for_warp_size_vIXT2_EEEvE4typeEPT_PT0_S4_ ; -- Begin function _Z33head_segmented_warp_reduce_kernelIfhLj64ELj4EENSt9enable_ifIXsr10test_utilsE35device_test_enabled_for_warp_size_vIXT2_EEEvE4typeEPT_PT0_S4_
	.globl	_Z33head_segmented_warp_reduce_kernelIfhLj64ELj4EENSt9enable_ifIXsr10test_utilsE35device_test_enabled_for_warp_size_vIXT2_EEEvE4typeEPT_PT0_S4_
	.p2align	8
	.type	_Z33head_segmented_warp_reduce_kernelIfhLj64ELj4EENSt9enable_ifIXsr10test_utilsE35device_test_enabled_for_warp_size_vIXT2_EEEvE4typeEPT_PT0_S4_,@function
_Z33head_segmented_warp_reduce_kernelIfhLj64ELj4EENSt9enable_ifIXsr10test_utilsE35device_test_enabled_for_warp_size_vIXT2_EEEvE4typeEPT_PT0_S4_: ; @_Z33head_segmented_warp_reduce_kernelIfhLj64ELj4EENSt9enable_ifIXsr10test_utilsE35device_test_enabled_for_warp_size_vIXT2_EEEvE4typeEPT_PT0_S4_
; %bb.0:
	s_clause 0x1
	s_load_b32 s2, s[0:1], 0x24
	s_load_b128 s[4:7], s[0:1], 0x0
	s_waitcnt lgkmcnt(0)
	s_and_b32 s2, s2, 0xffff
	s_delay_alu instid0(SALU_CYCLE_1) | instskip(SKIP_2) | instid1(VALU_DEP_1)
	v_mad_u64_u32 v[1:2], null, s15, s2, v[0:1]
	v_mov_b32_e32 v2, 0
	s_load_b64 s[2:3], s[0:1], 0x10
	v_lshlrev_b64 v[2:3], 2, v[1:2]
	s_delay_alu instid0(VALU_DEP_1) | instskip(NEXT) | instid1(VALU_DEP_2)
	v_add_co_u32 v4, vcc_lo, s4, v2
	v_add_co_ci_u32_e32 v5, vcc_lo, s5, v3, vcc_lo
	global_load_u8 v0, v1, s[6:7]
	global_load_b32 v1, v[4:5], off
	v_mbcnt_lo_u32_b32 v4, -1, 0
	s_delay_alu instid0(VALU_DEP_1) | instskip(NEXT) | instid1(VALU_DEP_1)
	v_and_b32_e32 v5, 3, v4
	v_cmp_ne_u32_e32 vcc_lo, 3, v5
	v_add_co_ci_u32_e32 v6, vcc_lo, 0, v4, vcc_lo
	s_delay_alu instid0(VALU_DEP_1)
	v_lshlrev_b32_e32 v6, 2, v6
	s_waitcnt vmcnt(1)
	v_cmp_ne_u16_e32 vcc_lo, 0, v0
	s_waitcnt vmcnt(0)
	ds_bpermute_b32 v6, v6, v1
	v_lshlrev_b32_e64 v0, v4, -1
	v_and_b32_e32 v7, 28, v4
	s_lshr_b32 s0, vcc_lo, 1
	v_cmp_gt_u32_e32 vcc_lo, 2, v5
	s_delay_alu instid0(VALU_DEP_3) | instskip(SKIP_2) | instid1(VALU_DEP_2)
	v_and_b32_e32 v0, s0, v0
	s_waitcnt lgkmcnt(0)
	v_add_f32_e32 v6, v1, v6
	v_lshrrev_b32_e32 v0, v7, v0
	v_cndmask_b32_e64 v7, 0, 1, vcc_lo
	s_delay_alu instid0(VALU_DEP_2) | instskip(NEXT) | instid1(VALU_DEP_1)
	v_or_b32_e32 v0, 8, v0
	v_ctz_i32_b32_e32 v0, v0
	s_delay_alu instid0(VALU_DEP_1) | instskip(NEXT) | instid1(VALU_DEP_4)
	v_cmp_lt_u32_e32 vcc_lo, v5, v0
	v_dual_cndmask_b32 v6, v1, v6 :: v_dual_lshlrev_b32 v7, 1, v7
	s_delay_alu instid0(VALU_DEP_1) | instskip(SKIP_3) | instid1(VALU_DEP_1)
	v_add_lshl_u32 v4, v7, v4, 2
	ds_bpermute_b32 v4, v4, v6
	s_waitcnt lgkmcnt(0)
	v_dual_add_f32 v4, v6, v4 :: v_dual_add_nc_u32 v5, 2, v5
	v_cmp_gt_u32_e64 s0, v5, v0
	s_delay_alu instid0(VALU_DEP_1) | instskip(NEXT) | instid1(VALU_DEP_1)
	v_cndmask_b32_e64 v0, v4, v6, s0
	v_cndmask_b32_e32 v4, v1, v0, vcc_lo
	v_add_co_u32 v0, vcc_lo, s2, v2
	v_add_co_ci_u32_e32 v1, vcc_lo, s3, v3, vcc_lo
	global_store_b32 v[0:1], v4, off
	s_nop 0
	s_sendmsg sendmsg(MSG_DEALLOC_VGPRS)
	s_endpgm
	.section	.rodata,"a",@progbits
	.p2align	6, 0x0
	.amdhsa_kernel _Z33head_segmented_warp_reduce_kernelIfhLj64ELj4EENSt9enable_ifIXsr10test_utilsE35device_test_enabled_for_warp_size_vIXT2_EEEvE4typeEPT_PT0_S4_
		.amdhsa_group_segment_fixed_size 0
		.amdhsa_private_segment_fixed_size 0
		.amdhsa_kernarg_size 280
		.amdhsa_user_sgpr_count 15
		.amdhsa_user_sgpr_dispatch_ptr 0
		.amdhsa_user_sgpr_queue_ptr 0
		.amdhsa_user_sgpr_kernarg_segment_ptr 1
		.amdhsa_user_sgpr_dispatch_id 0
		.amdhsa_user_sgpr_private_segment_size 0
		.amdhsa_wavefront_size32 1
		.amdhsa_uses_dynamic_stack 0
		.amdhsa_enable_private_segment 0
		.amdhsa_system_sgpr_workgroup_id_x 1
		.amdhsa_system_sgpr_workgroup_id_y 0
		.amdhsa_system_sgpr_workgroup_id_z 0
		.amdhsa_system_sgpr_workgroup_info 0
		.amdhsa_system_vgpr_workitem_id 0
		.amdhsa_next_free_vgpr 8
		.amdhsa_next_free_sgpr 16
		.amdhsa_reserve_vcc 1
		.amdhsa_float_round_mode_32 0
		.amdhsa_float_round_mode_16_64 0
		.amdhsa_float_denorm_mode_32 3
		.amdhsa_float_denorm_mode_16_64 3
		.amdhsa_dx10_clamp 1
		.amdhsa_ieee_mode 1
		.amdhsa_fp16_overflow 0
		.amdhsa_workgroup_processor_mode 1
		.amdhsa_memory_ordered 1
		.amdhsa_forward_progress 0
		.amdhsa_shared_vgpr_count 0
		.amdhsa_exception_fp_ieee_invalid_op 0
		.amdhsa_exception_fp_denorm_src 0
		.amdhsa_exception_fp_ieee_div_zero 0
		.amdhsa_exception_fp_ieee_overflow 0
		.amdhsa_exception_fp_ieee_underflow 0
		.amdhsa_exception_fp_ieee_inexact 0
		.amdhsa_exception_int_div_zero 0
	.end_amdhsa_kernel
	.section	.text._Z33head_segmented_warp_reduce_kernelIfhLj64ELj4EENSt9enable_ifIXsr10test_utilsE35device_test_enabled_for_warp_size_vIXT2_EEEvE4typeEPT_PT0_S4_,"axG",@progbits,_Z33head_segmented_warp_reduce_kernelIfhLj64ELj4EENSt9enable_ifIXsr10test_utilsE35device_test_enabled_for_warp_size_vIXT2_EEEvE4typeEPT_PT0_S4_,comdat
.Lfunc_end176:
	.size	_Z33head_segmented_warp_reduce_kernelIfhLj64ELj4EENSt9enable_ifIXsr10test_utilsE35device_test_enabled_for_warp_size_vIXT2_EEEvE4typeEPT_PT0_S4_, .Lfunc_end176-_Z33head_segmented_warp_reduce_kernelIfhLj64ELj4EENSt9enable_ifIXsr10test_utilsE35device_test_enabled_for_warp_size_vIXT2_EEEvE4typeEPT_PT0_S4_
                                        ; -- End function
	.section	.AMDGPU.csdata,"",@progbits
; Kernel info:
; codeLenInByte = 312
; NumSgprs: 18
; NumVgprs: 8
; ScratchSize: 0
; MemoryBound: 0
; FloatMode: 240
; IeeeMode: 1
; LDSByteSize: 0 bytes/workgroup (compile time only)
; SGPRBlocks: 2
; VGPRBlocks: 0
; NumSGPRsForWavesPerEU: 18
; NumVGPRsForWavesPerEU: 8
; Occupancy: 16
; WaveLimiterHint : 0
; COMPUTE_PGM_RSRC2:SCRATCH_EN: 0
; COMPUTE_PGM_RSRC2:USER_SGPR: 15
; COMPUTE_PGM_RSRC2:TRAP_HANDLER: 0
; COMPUTE_PGM_RSRC2:TGID_X_EN: 1
; COMPUTE_PGM_RSRC2:TGID_Y_EN: 0
; COMPUTE_PGM_RSRC2:TGID_Z_EN: 0
; COMPUTE_PGM_RSRC2:TIDIG_COMP_CNT: 0
	.section	.text._Z33head_segmented_warp_reduce_kernelIfhLj32ELj2EENSt9enable_ifIXsr10test_utilsE35device_test_enabled_for_warp_size_vIXT2_EEEvE4typeEPT_PT0_S4_,"axG",@progbits,_Z33head_segmented_warp_reduce_kernelIfhLj32ELj2EENSt9enable_ifIXsr10test_utilsE35device_test_enabled_for_warp_size_vIXT2_EEEvE4typeEPT_PT0_S4_,comdat
	.protected	_Z33head_segmented_warp_reduce_kernelIfhLj32ELj2EENSt9enable_ifIXsr10test_utilsE35device_test_enabled_for_warp_size_vIXT2_EEEvE4typeEPT_PT0_S4_ ; -- Begin function _Z33head_segmented_warp_reduce_kernelIfhLj32ELj2EENSt9enable_ifIXsr10test_utilsE35device_test_enabled_for_warp_size_vIXT2_EEEvE4typeEPT_PT0_S4_
	.globl	_Z33head_segmented_warp_reduce_kernelIfhLj32ELj2EENSt9enable_ifIXsr10test_utilsE35device_test_enabled_for_warp_size_vIXT2_EEEvE4typeEPT_PT0_S4_
	.p2align	8
	.type	_Z33head_segmented_warp_reduce_kernelIfhLj32ELj2EENSt9enable_ifIXsr10test_utilsE35device_test_enabled_for_warp_size_vIXT2_EEEvE4typeEPT_PT0_S4_,@function
_Z33head_segmented_warp_reduce_kernelIfhLj32ELj2EENSt9enable_ifIXsr10test_utilsE35device_test_enabled_for_warp_size_vIXT2_EEEvE4typeEPT_PT0_S4_: ; @_Z33head_segmented_warp_reduce_kernelIfhLj32ELj2EENSt9enable_ifIXsr10test_utilsE35device_test_enabled_for_warp_size_vIXT2_EEEvE4typeEPT_PT0_S4_
; %bb.0:
	s_clause 0x2
	s_load_b32 s2, s[0:1], 0x24
	s_load_b128 s[4:7], s[0:1], 0x0
	s_load_b64 s[0:1], s[0:1], 0x10
	s_waitcnt lgkmcnt(0)
	s_and_b32 s2, s2, 0xffff
	s_delay_alu instid0(SALU_CYCLE_1) | instskip(SKIP_1) | instid1(VALU_DEP_1)
	v_mad_u64_u32 v[1:2], null, s15, s2, v[0:1]
	v_mov_b32_e32 v2, 0
	v_lshlrev_b64 v[2:3], 2, v[1:2]
	s_delay_alu instid0(VALU_DEP_1) | instskip(NEXT) | instid1(VALU_DEP_2)
	v_add_co_u32 v4, vcc_lo, s4, v2
	v_add_co_ci_u32_e32 v5, vcc_lo, s5, v3, vcc_lo
	global_load_u8 v0, v1, s[6:7]
	global_load_b32 v1, v[4:5], off
	v_mbcnt_lo_u32_b32 v4, -1, 0
	s_delay_alu instid0(VALU_DEP_1)
	v_lshl_or_b32 v5, v4, 2, 4
	v_and_b32_e32 v6, 30, v4
	s_waitcnt vmcnt(1)
	v_cmp_ne_u16_e32 vcc_lo, 0, v0
	v_lshlrev_b32_e64 v0, v4, -1
	s_waitcnt vmcnt(0)
	ds_bpermute_b32 v5, v5, v1
	v_and_b32_e32 v4, 1, v4
	s_lshr_b32 s2, vcc_lo, 1
	s_delay_alu instid0(SALU_CYCLE_1) | instskip(NEXT) | instid1(VALU_DEP_1)
	v_and_b32_e32 v0, s2, v0
	v_lshrrev_b32_e32 v0, v6, v0
	s_delay_alu instid0(VALU_DEP_1) | instskip(SKIP_2) | instid1(VALU_DEP_2)
	v_or_b32_e32 v0, 2, v0
	s_waitcnt lgkmcnt(0)
	v_add_f32_e32 v5, v1, v5
	v_ctz_i32_b32_e32 v0, v0
	s_delay_alu instid0(VALU_DEP_1) | instskip(NEXT) | instid1(VALU_DEP_3)
	v_cmp_lt_u32_e32 vcc_lo, v4, v0
	v_cndmask_b32_e32 v4, v1, v5, vcc_lo
	v_add_co_u32 v0, vcc_lo, s0, v2
	v_add_co_ci_u32_e32 v1, vcc_lo, s1, v3, vcc_lo
	global_store_b32 v[0:1], v4, off
	s_nop 0
	s_sendmsg sendmsg(MSG_DEALLOC_VGPRS)
	s_endpgm
	.section	.rodata,"a",@progbits
	.p2align	6, 0x0
	.amdhsa_kernel _Z33head_segmented_warp_reduce_kernelIfhLj32ELj2EENSt9enable_ifIXsr10test_utilsE35device_test_enabled_for_warp_size_vIXT2_EEEvE4typeEPT_PT0_S4_
		.amdhsa_group_segment_fixed_size 0
		.amdhsa_private_segment_fixed_size 0
		.amdhsa_kernarg_size 280
		.amdhsa_user_sgpr_count 15
		.amdhsa_user_sgpr_dispatch_ptr 0
		.amdhsa_user_sgpr_queue_ptr 0
		.amdhsa_user_sgpr_kernarg_segment_ptr 1
		.amdhsa_user_sgpr_dispatch_id 0
		.amdhsa_user_sgpr_private_segment_size 0
		.amdhsa_wavefront_size32 1
		.amdhsa_uses_dynamic_stack 0
		.amdhsa_enable_private_segment 0
		.amdhsa_system_sgpr_workgroup_id_x 1
		.amdhsa_system_sgpr_workgroup_id_y 0
		.amdhsa_system_sgpr_workgroup_id_z 0
		.amdhsa_system_sgpr_workgroup_info 0
		.amdhsa_system_vgpr_workitem_id 0
		.amdhsa_next_free_vgpr 7
		.amdhsa_next_free_sgpr 16
		.amdhsa_reserve_vcc 1
		.amdhsa_float_round_mode_32 0
		.amdhsa_float_round_mode_16_64 0
		.amdhsa_float_denorm_mode_32 3
		.amdhsa_float_denorm_mode_16_64 3
		.amdhsa_dx10_clamp 1
		.amdhsa_ieee_mode 1
		.amdhsa_fp16_overflow 0
		.amdhsa_workgroup_processor_mode 1
		.amdhsa_memory_ordered 1
		.amdhsa_forward_progress 0
		.amdhsa_shared_vgpr_count 0
		.amdhsa_exception_fp_ieee_invalid_op 0
		.amdhsa_exception_fp_denorm_src 0
		.amdhsa_exception_fp_ieee_div_zero 0
		.amdhsa_exception_fp_ieee_overflow 0
		.amdhsa_exception_fp_ieee_underflow 0
		.amdhsa_exception_fp_ieee_inexact 0
		.amdhsa_exception_int_div_zero 0
	.end_amdhsa_kernel
	.section	.text._Z33head_segmented_warp_reduce_kernelIfhLj32ELj2EENSt9enable_ifIXsr10test_utilsE35device_test_enabled_for_warp_size_vIXT2_EEEvE4typeEPT_PT0_S4_,"axG",@progbits,_Z33head_segmented_warp_reduce_kernelIfhLj32ELj2EENSt9enable_ifIXsr10test_utilsE35device_test_enabled_for_warp_size_vIXT2_EEEvE4typeEPT_PT0_S4_,comdat
.Lfunc_end177:
	.size	_Z33head_segmented_warp_reduce_kernelIfhLj32ELj2EENSt9enable_ifIXsr10test_utilsE35device_test_enabled_for_warp_size_vIXT2_EEEvE4typeEPT_PT0_S4_, .Lfunc_end177-_Z33head_segmented_warp_reduce_kernelIfhLj32ELj2EENSt9enable_ifIXsr10test_utilsE35device_test_enabled_for_warp_size_vIXT2_EEEvE4typeEPT_PT0_S4_
                                        ; -- End function
	.section	.AMDGPU.csdata,"",@progbits
; Kernel info:
; codeLenInByte = 232
; NumSgprs: 18
; NumVgprs: 7
; ScratchSize: 0
; MemoryBound: 0
; FloatMode: 240
; IeeeMode: 1
; LDSByteSize: 0 bytes/workgroup (compile time only)
; SGPRBlocks: 2
; VGPRBlocks: 0
; NumSGPRsForWavesPerEU: 18
; NumVGPRsForWavesPerEU: 7
; Occupancy: 16
; WaveLimiterHint : 0
; COMPUTE_PGM_RSRC2:SCRATCH_EN: 0
; COMPUTE_PGM_RSRC2:USER_SGPR: 15
; COMPUTE_PGM_RSRC2:TRAP_HANDLER: 0
; COMPUTE_PGM_RSRC2:TGID_X_EN: 1
; COMPUTE_PGM_RSRC2:TGID_Y_EN: 0
; COMPUTE_PGM_RSRC2:TGID_Z_EN: 0
; COMPUTE_PGM_RSRC2:TIDIG_COMP_CNT: 0
	.section	.text._Z33head_segmented_warp_reduce_kernelIfhLj64ELj2EENSt9enable_ifIXsr10test_utilsE35device_test_enabled_for_warp_size_vIXT2_EEEvE4typeEPT_PT0_S4_,"axG",@progbits,_Z33head_segmented_warp_reduce_kernelIfhLj64ELj2EENSt9enable_ifIXsr10test_utilsE35device_test_enabled_for_warp_size_vIXT2_EEEvE4typeEPT_PT0_S4_,comdat
	.protected	_Z33head_segmented_warp_reduce_kernelIfhLj64ELj2EENSt9enable_ifIXsr10test_utilsE35device_test_enabled_for_warp_size_vIXT2_EEEvE4typeEPT_PT0_S4_ ; -- Begin function _Z33head_segmented_warp_reduce_kernelIfhLj64ELj2EENSt9enable_ifIXsr10test_utilsE35device_test_enabled_for_warp_size_vIXT2_EEEvE4typeEPT_PT0_S4_
	.globl	_Z33head_segmented_warp_reduce_kernelIfhLj64ELj2EENSt9enable_ifIXsr10test_utilsE35device_test_enabled_for_warp_size_vIXT2_EEEvE4typeEPT_PT0_S4_
	.p2align	8
	.type	_Z33head_segmented_warp_reduce_kernelIfhLj64ELj2EENSt9enable_ifIXsr10test_utilsE35device_test_enabled_for_warp_size_vIXT2_EEEvE4typeEPT_PT0_S4_,@function
_Z33head_segmented_warp_reduce_kernelIfhLj64ELj2EENSt9enable_ifIXsr10test_utilsE35device_test_enabled_for_warp_size_vIXT2_EEEvE4typeEPT_PT0_S4_: ; @_Z33head_segmented_warp_reduce_kernelIfhLj64ELj2EENSt9enable_ifIXsr10test_utilsE35device_test_enabled_for_warp_size_vIXT2_EEEvE4typeEPT_PT0_S4_
; %bb.0:
	s_clause 0x2
	s_load_b32 s2, s[0:1], 0x24
	s_load_b128 s[4:7], s[0:1], 0x0
	s_load_b64 s[0:1], s[0:1], 0x10
	s_waitcnt lgkmcnt(0)
	s_and_b32 s2, s2, 0xffff
	s_delay_alu instid0(SALU_CYCLE_1) | instskip(SKIP_1) | instid1(VALU_DEP_1)
	v_mad_u64_u32 v[1:2], null, s15, s2, v[0:1]
	v_mov_b32_e32 v2, 0
	v_lshlrev_b64 v[2:3], 2, v[1:2]
	s_delay_alu instid0(VALU_DEP_1) | instskip(NEXT) | instid1(VALU_DEP_2)
	v_add_co_u32 v4, vcc_lo, s4, v2
	v_add_co_ci_u32_e32 v5, vcc_lo, s5, v3, vcc_lo
	global_load_u8 v0, v1, s[6:7]
	global_load_b32 v1, v[4:5], off
	v_mbcnt_lo_u32_b32 v4, -1, 0
	s_delay_alu instid0(VALU_DEP_1)
	v_lshl_or_b32 v5, v4, 2, 4
	v_and_b32_e32 v6, 30, v4
	s_waitcnt vmcnt(1)
	v_cmp_ne_u16_e32 vcc_lo, 0, v0
	v_lshlrev_b32_e64 v0, v4, -1
	s_waitcnt vmcnt(0)
	ds_bpermute_b32 v5, v5, v1
	v_and_b32_e32 v4, 1, v4
	s_lshr_b32 s2, vcc_lo, 1
	s_delay_alu instid0(SALU_CYCLE_1) | instskip(NEXT) | instid1(VALU_DEP_1)
	v_and_b32_e32 v0, s2, v0
	v_lshrrev_b32_e32 v0, v6, v0
	s_delay_alu instid0(VALU_DEP_1) | instskip(SKIP_2) | instid1(VALU_DEP_2)
	v_or_b32_e32 v0, 2, v0
	s_waitcnt lgkmcnt(0)
	v_add_f32_e32 v5, v1, v5
	v_ctz_i32_b32_e32 v0, v0
	s_delay_alu instid0(VALU_DEP_1) | instskip(NEXT) | instid1(VALU_DEP_3)
	v_cmp_lt_u32_e32 vcc_lo, v4, v0
	v_cndmask_b32_e32 v4, v1, v5, vcc_lo
	v_add_co_u32 v0, vcc_lo, s0, v2
	v_add_co_ci_u32_e32 v1, vcc_lo, s1, v3, vcc_lo
	global_store_b32 v[0:1], v4, off
	s_nop 0
	s_sendmsg sendmsg(MSG_DEALLOC_VGPRS)
	s_endpgm
	.section	.rodata,"a",@progbits
	.p2align	6, 0x0
	.amdhsa_kernel _Z33head_segmented_warp_reduce_kernelIfhLj64ELj2EENSt9enable_ifIXsr10test_utilsE35device_test_enabled_for_warp_size_vIXT2_EEEvE4typeEPT_PT0_S4_
		.amdhsa_group_segment_fixed_size 0
		.amdhsa_private_segment_fixed_size 0
		.amdhsa_kernarg_size 280
		.amdhsa_user_sgpr_count 15
		.amdhsa_user_sgpr_dispatch_ptr 0
		.amdhsa_user_sgpr_queue_ptr 0
		.amdhsa_user_sgpr_kernarg_segment_ptr 1
		.amdhsa_user_sgpr_dispatch_id 0
		.amdhsa_user_sgpr_private_segment_size 0
		.amdhsa_wavefront_size32 1
		.amdhsa_uses_dynamic_stack 0
		.amdhsa_enable_private_segment 0
		.amdhsa_system_sgpr_workgroup_id_x 1
		.amdhsa_system_sgpr_workgroup_id_y 0
		.amdhsa_system_sgpr_workgroup_id_z 0
		.amdhsa_system_sgpr_workgroup_info 0
		.amdhsa_system_vgpr_workitem_id 0
		.amdhsa_next_free_vgpr 7
		.amdhsa_next_free_sgpr 16
		.amdhsa_reserve_vcc 1
		.amdhsa_float_round_mode_32 0
		.amdhsa_float_round_mode_16_64 0
		.amdhsa_float_denorm_mode_32 3
		.amdhsa_float_denorm_mode_16_64 3
		.amdhsa_dx10_clamp 1
		.amdhsa_ieee_mode 1
		.amdhsa_fp16_overflow 0
		.amdhsa_workgroup_processor_mode 1
		.amdhsa_memory_ordered 1
		.amdhsa_forward_progress 0
		.amdhsa_shared_vgpr_count 0
		.amdhsa_exception_fp_ieee_invalid_op 0
		.amdhsa_exception_fp_denorm_src 0
		.amdhsa_exception_fp_ieee_div_zero 0
		.amdhsa_exception_fp_ieee_overflow 0
		.amdhsa_exception_fp_ieee_underflow 0
		.amdhsa_exception_fp_ieee_inexact 0
		.amdhsa_exception_int_div_zero 0
	.end_amdhsa_kernel
	.section	.text._Z33head_segmented_warp_reduce_kernelIfhLj64ELj2EENSt9enable_ifIXsr10test_utilsE35device_test_enabled_for_warp_size_vIXT2_EEEvE4typeEPT_PT0_S4_,"axG",@progbits,_Z33head_segmented_warp_reduce_kernelIfhLj64ELj2EENSt9enable_ifIXsr10test_utilsE35device_test_enabled_for_warp_size_vIXT2_EEEvE4typeEPT_PT0_S4_,comdat
.Lfunc_end178:
	.size	_Z33head_segmented_warp_reduce_kernelIfhLj64ELj2EENSt9enable_ifIXsr10test_utilsE35device_test_enabled_for_warp_size_vIXT2_EEEvE4typeEPT_PT0_S4_, .Lfunc_end178-_Z33head_segmented_warp_reduce_kernelIfhLj64ELj2EENSt9enable_ifIXsr10test_utilsE35device_test_enabled_for_warp_size_vIXT2_EEEvE4typeEPT_PT0_S4_
                                        ; -- End function
	.section	.AMDGPU.csdata,"",@progbits
; Kernel info:
; codeLenInByte = 232
; NumSgprs: 18
; NumVgprs: 7
; ScratchSize: 0
; MemoryBound: 0
; FloatMode: 240
; IeeeMode: 1
; LDSByteSize: 0 bytes/workgroup (compile time only)
; SGPRBlocks: 2
; VGPRBlocks: 0
; NumSGPRsForWavesPerEU: 18
; NumVGPRsForWavesPerEU: 7
; Occupancy: 16
; WaveLimiterHint : 0
; COMPUTE_PGM_RSRC2:SCRATCH_EN: 0
; COMPUTE_PGM_RSRC2:USER_SGPR: 15
; COMPUTE_PGM_RSRC2:TRAP_HANDLER: 0
; COMPUTE_PGM_RSRC2:TGID_X_EN: 1
; COMPUTE_PGM_RSRC2:TGID_Y_EN: 0
; COMPUTE_PGM_RSRC2:TGID_Z_EN: 0
; COMPUTE_PGM_RSRC2:TIDIG_COMP_CNT: 0
	.section	.text._Z33head_segmented_warp_reduce_kernelIfhLj32ELj1EENSt9enable_ifIXsr10test_utilsE35device_test_enabled_for_warp_size_vIXT2_EEEvE4typeEPT_PT0_S4_,"axG",@progbits,_Z33head_segmented_warp_reduce_kernelIfhLj32ELj1EENSt9enable_ifIXsr10test_utilsE35device_test_enabled_for_warp_size_vIXT2_EEEvE4typeEPT_PT0_S4_,comdat
	.protected	_Z33head_segmented_warp_reduce_kernelIfhLj32ELj1EENSt9enable_ifIXsr10test_utilsE35device_test_enabled_for_warp_size_vIXT2_EEEvE4typeEPT_PT0_S4_ ; -- Begin function _Z33head_segmented_warp_reduce_kernelIfhLj32ELj1EENSt9enable_ifIXsr10test_utilsE35device_test_enabled_for_warp_size_vIXT2_EEEvE4typeEPT_PT0_S4_
	.globl	_Z33head_segmented_warp_reduce_kernelIfhLj32ELj1EENSt9enable_ifIXsr10test_utilsE35device_test_enabled_for_warp_size_vIXT2_EEEvE4typeEPT_PT0_S4_
	.p2align	8
	.type	_Z33head_segmented_warp_reduce_kernelIfhLj32ELj1EENSt9enable_ifIXsr10test_utilsE35device_test_enabled_for_warp_size_vIXT2_EEEvE4typeEPT_PT0_S4_,@function
_Z33head_segmented_warp_reduce_kernelIfhLj32ELj1EENSt9enable_ifIXsr10test_utilsE35device_test_enabled_for_warp_size_vIXT2_EEEvE4typeEPT_PT0_S4_: ; @_Z33head_segmented_warp_reduce_kernelIfhLj32ELj1EENSt9enable_ifIXsr10test_utilsE35device_test_enabled_for_warp_size_vIXT2_EEEvE4typeEPT_PT0_S4_
; %bb.0:
	s_clause 0x2
	s_load_b32 s4, s[0:1], 0x24
	s_load_b64 s[2:3], s[0:1], 0x0
	s_load_b64 s[0:1], s[0:1], 0x10
	s_waitcnt lgkmcnt(0)
	s_and_b32 s4, s4, 0xffff
	s_delay_alu instid0(SALU_CYCLE_1) | instskip(SKIP_1) | instid1(VALU_DEP_1)
	v_mad_u64_u32 v[1:2], null, s15, s4, v[0:1]
	v_mov_b32_e32 v2, 0
	v_lshlrev_b64 v[0:1], 2, v[1:2]
	s_delay_alu instid0(VALU_DEP_1) | instskip(NEXT) | instid1(VALU_DEP_2)
	v_add_co_u32 v2, vcc_lo, s2, v0
	v_add_co_ci_u32_e32 v3, vcc_lo, s3, v1, vcc_lo
	v_add_co_u32 v0, vcc_lo, s0, v0
	v_add_co_ci_u32_e32 v1, vcc_lo, s1, v1, vcc_lo
	global_load_b32 v2, v[2:3], off
	s_waitcnt vmcnt(0)
	global_store_b32 v[0:1], v2, off
	s_nop 0
	s_sendmsg sendmsg(MSG_DEALLOC_VGPRS)
	s_endpgm
	.section	.rodata,"a",@progbits
	.p2align	6, 0x0
	.amdhsa_kernel _Z33head_segmented_warp_reduce_kernelIfhLj32ELj1EENSt9enable_ifIXsr10test_utilsE35device_test_enabled_for_warp_size_vIXT2_EEEvE4typeEPT_PT0_S4_
		.amdhsa_group_segment_fixed_size 0
		.amdhsa_private_segment_fixed_size 0
		.amdhsa_kernarg_size 280
		.amdhsa_user_sgpr_count 15
		.amdhsa_user_sgpr_dispatch_ptr 0
		.amdhsa_user_sgpr_queue_ptr 0
		.amdhsa_user_sgpr_kernarg_segment_ptr 1
		.amdhsa_user_sgpr_dispatch_id 0
		.amdhsa_user_sgpr_private_segment_size 0
		.amdhsa_wavefront_size32 1
		.amdhsa_uses_dynamic_stack 0
		.amdhsa_enable_private_segment 0
		.amdhsa_system_sgpr_workgroup_id_x 1
		.amdhsa_system_sgpr_workgroup_id_y 0
		.amdhsa_system_sgpr_workgroup_id_z 0
		.amdhsa_system_sgpr_workgroup_info 0
		.amdhsa_system_vgpr_workitem_id 0
		.amdhsa_next_free_vgpr 4
		.amdhsa_next_free_sgpr 16
		.amdhsa_reserve_vcc 1
		.amdhsa_float_round_mode_32 0
		.amdhsa_float_round_mode_16_64 0
		.amdhsa_float_denorm_mode_32 3
		.amdhsa_float_denorm_mode_16_64 3
		.amdhsa_dx10_clamp 1
		.amdhsa_ieee_mode 1
		.amdhsa_fp16_overflow 0
		.amdhsa_workgroup_processor_mode 1
		.amdhsa_memory_ordered 1
		.amdhsa_forward_progress 0
		.amdhsa_shared_vgpr_count 0
		.amdhsa_exception_fp_ieee_invalid_op 0
		.amdhsa_exception_fp_denorm_src 0
		.amdhsa_exception_fp_ieee_div_zero 0
		.amdhsa_exception_fp_ieee_overflow 0
		.amdhsa_exception_fp_ieee_underflow 0
		.amdhsa_exception_fp_ieee_inexact 0
		.amdhsa_exception_int_div_zero 0
	.end_amdhsa_kernel
	.section	.text._Z33head_segmented_warp_reduce_kernelIfhLj32ELj1EENSt9enable_ifIXsr10test_utilsE35device_test_enabled_for_warp_size_vIXT2_EEEvE4typeEPT_PT0_S4_,"axG",@progbits,_Z33head_segmented_warp_reduce_kernelIfhLj32ELj1EENSt9enable_ifIXsr10test_utilsE35device_test_enabled_for_warp_size_vIXT2_EEEvE4typeEPT_PT0_S4_,comdat
.Lfunc_end179:
	.size	_Z33head_segmented_warp_reduce_kernelIfhLj32ELj1EENSt9enable_ifIXsr10test_utilsE35device_test_enabled_for_warp_size_vIXT2_EEEvE4typeEPT_PT0_S4_, .Lfunc_end179-_Z33head_segmented_warp_reduce_kernelIfhLj32ELj1EENSt9enable_ifIXsr10test_utilsE35device_test_enabled_for_warp_size_vIXT2_EEEvE4typeEPT_PT0_S4_
                                        ; -- End function
	.section	.AMDGPU.csdata,"",@progbits
; Kernel info:
; codeLenInByte = 124
; NumSgprs: 18
; NumVgprs: 4
; ScratchSize: 0
; MemoryBound: 0
; FloatMode: 240
; IeeeMode: 1
; LDSByteSize: 0 bytes/workgroup (compile time only)
; SGPRBlocks: 2
; VGPRBlocks: 0
; NumSGPRsForWavesPerEU: 18
; NumVGPRsForWavesPerEU: 4
; Occupancy: 16
; WaveLimiterHint : 0
; COMPUTE_PGM_RSRC2:SCRATCH_EN: 0
; COMPUTE_PGM_RSRC2:USER_SGPR: 15
; COMPUTE_PGM_RSRC2:TRAP_HANDLER: 0
; COMPUTE_PGM_RSRC2:TGID_X_EN: 1
; COMPUTE_PGM_RSRC2:TGID_Y_EN: 0
; COMPUTE_PGM_RSRC2:TGID_Z_EN: 0
; COMPUTE_PGM_RSRC2:TIDIG_COMP_CNT: 0
	.section	.text._Z33head_segmented_warp_reduce_kernelIfhLj64ELj1EENSt9enable_ifIXsr10test_utilsE35device_test_enabled_for_warp_size_vIXT2_EEEvE4typeEPT_PT0_S4_,"axG",@progbits,_Z33head_segmented_warp_reduce_kernelIfhLj64ELj1EENSt9enable_ifIXsr10test_utilsE35device_test_enabled_for_warp_size_vIXT2_EEEvE4typeEPT_PT0_S4_,comdat
	.protected	_Z33head_segmented_warp_reduce_kernelIfhLj64ELj1EENSt9enable_ifIXsr10test_utilsE35device_test_enabled_for_warp_size_vIXT2_EEEvE4typeEPT_PT0_S4_ ; -- Begin function _Z33head_segmented_warp_reduce_kernelIfhLj64ELj1EENSt9enable_ifIXsr10test_utilsE35device_test_enabled_for_warp_size_vIXT2_EEEvE4typeEPT_PT0_S4_
	.globl	_Z33head_segmented_warp_reduce_kernelIfhLj64ELj1EENSt9enable_ifIXsr10test_utilsE35device_test_enabled_for_warp_size_vIXT2_EEEvE4typeEPT_PT0_S4_
	.p2align	8
	.type	_Z33head_segmented_warp_reduce_kernelIfhLj64ELj1EENSt9enable_ifIXsr10test_utilsE35device_test_enabled_for_warp_size_vIXT2_EEEvE4typeEPT_PT0_S4_,@function
_Z33head_segmented_warp_reduce_kernelIfhLj64ELj1EENSt9enable_ifIXsr10test_utilsE35device_test_enabled_for_warp_size_vIXT2_EEEvE4typeEPT_PT0_S4_: ; @_Z33head_segmented_warp_reduce_kernelIfhLj64ELj1EENSt9enable_ifIXsr10test_utilsE35device_test_enabled_for_warp_size_vIXT2_EEEvE4typeEPT_PT0_S4_
; %bb.0:
	s_clause 0x2
	s_load_b32 s4, s[0:1], 0x24
	s_load_b64 s[2:3], s[0:1], 0x0
	s_load_b64 s[0:1], s[0:1], 0x10
	s_waitcnt lgkmcnt(0)
	s_and_b32 s4, s4, 0xffff
	s_delay_alu instid0(SALU_CYCLE_1) | instskip(SKIP_1) | instid1(VALU_DEP_1)
	v_mad_u64_u32 v[1:2], null, s15, s4, v[0:1]
	v_mov_b32_e32 v2, 0
	v_lshlrev_b64 v[0:1], 2, v[1:2]
	s_delay_alu instid0(VALU_DEP_1) | instskip(NEXT) | instid1(VALU_DEP_2)
	v_add_co_u32 v2, vcc_lo, s2, v0
	v_add_co_ci_u32_e32 v3, vcc_lo, s3, v1, vcc_lo
	v_add_co_u32 v0, vcc_lo, s0, v0
	v_add_co_ci_u32_e32 v1, vcc_lo, s1, v1, vcc_lo
	global_load_b32 v2, v[2:3], off
	s_waitcnt vmcnt(0)
	global_store_b32 v[0:1], v2, off
	s_nop 0
	s_sendmsg sendmsg(MSG_DEALLOC_VGPRS)
	s_endpgm
	.section	.rodata,"a",@progbits
	.p2align	6, 0x0
	.amdhsa_kernel _Z33head_segmented_warp_reduce_kernelIfhLj64ELj1EENSt9enable_ifIXsr10test_utilsE35device_test_enabled_for_warp_size_vIXT2_EEEvE4typeEPT_PT0_S4_
		.amdhsa_group_segment_fixed_size 0
		.amdhsa_private_segment_fixed_size 0
		.amdhsa_kernarg_size 280
		.amdhsa_user_sgpr_count 15
		.amdhsa_user_sgpr_dispatch_ptr 0
		.amdhsa_user_sgpr_queue_ptr 0
		.amdhsa_user_sgpr_kernarg_segment_ptr 1
		.amdhsa_user_sgpr_dispatch_id 0
		.amdhsa_user_sgpr_private_segment_size 0
		.amdhsa_wavefront_size32 1
		.amdhsa_uses_dynamic_stack 0
		.amdhsa_enable_private_segment 0
		.amdhsa_system_sgpr_workgroup_id_x 1
		.amdhsa_system_sgpr_workgroup_id_y 0
		.amdhsa_system_sgpr_workgroup_id_z 0
		.amdhsa_system_sgpr_workgroup_info 0
		.amdhsa_system_vgpr_workitem_id 0
		.amdhsa_next_free_vgpr 4
		.amdhsa_next_free_sgpr 16
		.amdhsa_reserve_vcc 1
		.amdhsa_float_round_mode_32 0
		.amdhsa_float_round_mode_16_64 0
		.amdhsa_float_denorm_mode_32 3
		.amdhsa_float_denorm_mode_16_64 3
		.amdhsa_dx10_clamp 1
		.amdhsa_ieee_mode 1
		.amdhsa_fp16_overflow 0
		.amdhsa_workgroup_processor_mode 1
		.amdhsa_memory_ordered 1
		.amdhsa_forward_progress 0
		.amdhsa_shared_vgpr_count 0
		.amdhsa_exception_fp_ieee_invalid_op 0
		.amdhsa_exception_fp_denorm_src 0
		.amdhsa_exception_fp_ieee_div_zero 0
		.amdhsa_exception_fp_ieee_overflow 0
		.amdhsa_exception_fp_ieee_underflow 0
		.amdhsa_exception_fp_ieee_inexact 0
		.amdhsa_exception_int_div_zero 0
	.end_amdhsa_kernel
	.section	.text._Z33head_segmented_warp_reduce_kernelIfhLj64ELj1EENSt9enable_ifIXsr10test_utilsE35device_test_enabled_for_warp_size_vIXT2_EEEvE4typeEPT_PT0_S4_,"axG",@progbits,_Z33head_segmented_warp_reduce_kernelIfhLj64ELj1EENSt9enable_ifIXsr10test_utilsE35device_test_enabled_for_warp_size_vIXT2_EEEvE4typeEPT_PT0_S4_,comdat
.Lfunc_end180:
	.size	_Z33head_segmented_warp_reduce_kernelIfhLj64ELj1EENSt9enable_ifIXsr10test_utilsE35device_test_enabled_for_warp_size_vIXT2_EEEvE4typeEPT_PT0_S4_, .Lfunc_end180-_Z33head_segmented_warp_reduce_kernelIfhLj64ELj1EENSt9enable_ifIXsr10test_utilsE35device_test_enabled_for_warp_size_vIXT2_EEEvE4typeEPT_PT0_S4_
                                        ; -- End function
	.section	.AMDGPU.csdata,"",@progbits
; Kernel info:
; codeLenInByte = 124
; NumSgprs: 18
; NumVgprs: 4
; ScratchSize: 0
; MemoryBound: 0
; FloatMode: 240
; IeeeMode: 1
; LDSByteSize: 0 bytes/workgroup (compile time only)
; SGPRBlocks: 2
; VGPRBlocks: 0
; NumSGPRsForWavesPerEU: 18
; NumVGPRsForWavesPerEU: 4
; Occupancy: 16
; WaveLimiterHint : 0
; COMPUTE_PGM_RSRC2:SCRATCH_EN: 0
; COMPUTE_PGM_RSRC2:USER_SGPR: 15
; COMPUTE_PGM_RSRC2:TRAP_HANDLER: 0
; COMPUTE_PGM_RSRC2:TGID_X_EN: 1
; COMPUTE_PGM_RSRC2:TGID_Y_EN: 0
; COMPUTE_PGM_RSRC2:TGID_Z_EN: 0
; COMPUTE_PGM_RSRC2:TIDIG_COMP_CNT: 0
	.section	.text._Z33head_segmented_warp_reduce_kernelIihLj256ELj64EENSt9enable_ifIXntsr10test_utilsE35device_test_enabled_for_warp_size_vIXT2_EEEvE4typeEPT_PT0_S4_,"axG",@progbits,_Z33head_segmented_warp_reduce_kernelIihLj256ELj64EENSt9enable_ifIXntsr10test_utilsE35device_test_enabled_for_warp_size_vIXT2_EEEvE4typeEPT_PT0_S4_,comdat
	.protected	_Z33head_segmented_warp_reduce_kernelIihLj256ELj64EENSt9enable_ifIXntsr10test_utilsE35device_test_enabled_for_warp_size_vIXT2_EEEvE4typeEPT_PT0_S4_ ; -- Begin function _Z33head_segmented_warp_reduce_kernelIihLj256ELj64EENSt9enable_ifIXntsr10test_utilsE35device_test_enabled_for_warp_size_vIXT2_EEEvE4typeEPT_PT0_S4_
	.globl	_Z33head_segmented_warp_reduce_kernelIihLj256ELj64EENSt9enable_ifIXntsr10test_utilsE35device_test_enabled_for_warp_size_vIXT2_EEEvE4typeEPT_PT0_S4_
	.p2align	8
	.type	_Z33head_segmented_warp_reduce_kernelIihLj256ELj64EENSt9enable_ifIXntsr10test_utilsE35device_test_enabled_for_warp_size_vIXT2_EEEvE4typeEPT_PT0_S4_,@function
_Z33head_segmented_warp_reduce_kernelIihLj256ELj64EENSt9enable_ifIXntsr10test_utilsE35device_test_enabled_for_warp_size_vIXT2_EEEvE4typeEPT_PT0_S4_: ; @_Z33head_segmented_warp_reduce_kernelIihLj256ELj64EENSt9enable_ifIXntsr10test_utilsE35device_test_enabled_for_warp_size_vIXT2_EEEvE4typeEPT_PT0_S4_
; %bb.0:
	s_endpgm
	.section	.rodata,"a",@progbits
	.p2align	6, 0x0
	.amdhsa_kernel _Z33head_segmented_warp_reduce_kernelIihLj256ELj64EENSt9enable_ifIXntsr10test_utilsE35device_test_enabled_for_warp_size_vIXT2_EEEvE4typeEPT_PT0_S4_
		.amdhsa_group_segment_fixed_size 0
		.amdhsa_private_segment_fixed_size 0
		.amdhsa_kernarg_size 24
		.amdhsa_user_sgpr_count 15
		.amdhsa_user_sgpr_dispatch_ptr 0
		.amdhsa_user_sgpr_queue_ptr 0
		.amdhsa_user_sgpr_kernarg_segment_ptr 1
		.amdhsa_user_sgpr_dispatch_id 0
		.amdhsa_user_sgpr_private_segment_size 0
		.amdhsa_wavefront_size32 1
		.amdhsa_uses_dynamic_stack 0
		.amdhsa_enable_private_segment 0
		.amdhsa_system_sgpr_workgroup_id_x 1
		.amdhsa_system_sgpr_workgroup_id_y 0
		.amdhsa_system_sgpr_workgroup_id_z 0
		.amdhsa_system_sgpr_workgroup_info 0
		.amdhsa_system_vgpr_workitem_id 0
		.amdhsa_next_free_vgpr 1
		.amdhsa_next_free_sgpr 1
		.amdhsa_reserve_vcc 0
		.amdhsa_float_round_mode_32 0
		.amdhsa_float_round_mode_16_64 0
		.amdhsa_float_denorm_mode_32 3
		.amdhsa_float_denorm_mode_16_64 3
		.amdhsa_dx10_clamp 1
		.amdhsa_ieee_mode 1
		.amdhsa_fp16_overflow 0
		.amdhsa_workgroup_processor_mode 1
		.amdhsa_memory_ordered 1
		.amdhsa_forward_progress 0
		.amdhsa_shared_vgpr_count 0
		.amdhsa_exception_fp_ieee_invalid_op 0
		.amdhsa_exception_fp_denorm_src 0
		.amdhsa_exception_fp_ieee_div_zero 0
		.amdhsa_exception_fp_ieee_overflow 0
		.amdhsa_exception_fp_ieee_underflow 0
		.amdhsa_exception_fp_ieee_inexact 0
		.amdhsa_exception_int_div_zero 0
	.end_amdhsa_kernel
	.section	.text._Z33head_segmented_warp_reduce_kernelIihLj256ELj64EENSt9enable_ifIXntsr10test_utilsE35device_test_enabled_for_warp_size_vIXT2_EEEvE4typeEPT_PT0_S4_,"axG",@progbits,_Z33head_segmented_warp_reduce_kernelIihLj256ELj64EENSt9enable_ifIXntsr10test_utilsE35device_test_enabled_for_warp_size_vIXT2_EEEvE4typeEPT_PT0_S4_,comdat
.Lfunc_end181:
	.size	_Z33head_segmented_warp_reduce_kernelIihLj256ELj64EENSt9enable_ifIXntsr10test_utilsE35device_test_enabled_for_warp_size_vIXT2_EEEvE4typeEPT_PT0_S4_, .Lfunc_end181-_Z33head_segmented_warp_reduce_kernelIihLj256ELj64EENSt9enable_ifIXntsr10test_utilsE35device_test_enabled_for_warp_size_vIXT2_EEEvE4typeEPT_PT0_S4_
                                        ; -- End function
	.section	.AMDGPU.csdata,"",@progbits
; Kernel info:
; codeLenInByte = 4
; NumSgprs: 0
; NumVgprs: 0
; ScratchSize: 0
; MemoryBound: 0
; FloatMode: 240
; IeeeMode: 1
; LDSByteSize: 0 bytes/workgroup (compile time only)
; SGPRBlocks: 0
; VGPRBlocks: 0
; NumSGPRsForWavesPerEU: 1
; NumVGPRsForWavesPerEU: 1
; Occupancy: 16
; WaveLimiterHint : 0
; COMPUTE_PGM_RSRC2:SCRATCH_EN: 0
; COMPUTE_PGM_RSRC2:USER_SGPR: 15
; COMPUTE_PGM_RSRC2:TRAP_HANDLER: 0
; COMPUTE_PGM_RSRC2:TGID_X_EN: 1
; COMPUTE_PGM_RSRC2:TGID_Y_EN: 0
; COMPUTE_PGM_RSRC2:TGID_Z_EN: 0
; COMPUTE_PGM_RSRC2:TIDIG_COMP_CNT: 0
	.section	.text._Z33head_segmented_warp_reduce_kernelIihLj128ELj32EENSt9enable_ifIXsr10test_utilsE35device_test_enabled_for_warp_size_vIXT2_EEEvE4typeEPT_PT0_S4_,"axG",@progbits,_Z33head_segmented_warp_reduce_kernelIihLj128ELj32EENSt9enable_ifIXsr10test_utilsE35device_test_enabled_for_warp_size_vIXT2_EEEvE4typeEPT_PT0_S4_,comdat
	.protected	_Z33head_segmented_warp_reduce_kernelIihLj128ELj32EENSt9enable_ifIXsr10test_utilsE35device_test_enabled_for_warp_size_vIXT2_EEEvE4typeEPT_PT0_S4_ ; -- Begin function _Z33head_segmented_warp_reduce_kernelIihLj128ELj32EENSt9enable_ifIXsr10test_utilsE35device_test_enabled_for_warp_size_vIXT2_EEEvE4typeEPT_PT0_S4_
	.globl	_Z33head_segmented_warp_reduce_kernelIihLj128ELj32EENSt9enable_ifIXsr10test_utilsE35device_test_enabled_for_warp_size_vIXT2_EEEvE4typeEPT_PT0_S4_
	.p2align	8
	.type	_Z33head_segmented_warp_reduce_kernelIihLj128ELj32EENSt9enable_ifIXsr10test_utilsE35device_test_enabled_for_warp_size_vIXT2_EEEvE4typeEPT_PT0_S4_,@function
_Z33head_segmented_warp_reduce_kernelIihLj128ELj32EENSt9enable_ifIXsr10test_utilsE35device_test_enabled_for_warp_size_vIXT2_EEEvE4typeEPT_PT0_S4_: ; @_Z33head_segmented_warp_reduce_kernelIihLj128ELj32EENSt9enable_ifIXsr10test_utilsE35device_test_enabled_for_warp_size_vIXT2_EEEvE4typeEPT_PT0_S4_
; %bb.0:
	s_clause 0x2
	s_load_b32 s2, s[0:1], 0x24
	s_load_b128 s[4:7], s[0:1], 0x0
	s_load_b64 s[0:1], s[0:1], 0x10
	s_waitcnt lgkmcnt(0)
	s_and_b32 s2, s2, 0xffff
	s_delay_alu instid0(SALU_CYCLE_1) | instskip(SKIP_1) | instid1(VALU_DEP_1)
	v_mad_u64_u32 v[1:2], null, s15, s2, v[0:1]
	v_mov_b32_e32 v2, 0
	v_lshlrev_b64 v[2:3], 2, v[1:2]
	s_delay_alu instid0(VALU_DEP_1) | instskip(NEXT) | instid1(VALU_DEP_2)
	v_add_co_u32 v4, vcc_lo, s4, v2
	v_add_co_ci_u32_e32 v5, vcc_lo, s5, v3, vcc_lo
	global_load_b32 v0, v[4:5], off
	global_load_u8 v1, v1, s[6:7]
	v_mbcnt_lo_u32_b32 v4, -1, 0
	s_delay_alu instid0(VALU_DEP_1) | instskip(SKIP_1) | instid1(VALU_DEP_1)
	v_cmp_ne_u32_e32 vcc_lo, 31, v4
	v_add_co_ci_u32_e32 v5, vcc_lo, 0, v4, vcc_lo
	v_lshlrev_b32_e32 v5, 2, v5
	s_waitcnt vmcnt(1)
	ds_bpermute_b32 v5, v5, v0
	s_waitcnt vmcnt(0)
	v_cmp_ne_u16_e32 vcc_lo, 0, v1
	v_lshlrev_b32_e64 v1, v4, -1
	v_add_nc_u32_e32 v6, 1, v4
	s_lshr_b32 s2, vcc_lo, 1
	v_cmp_gt_u32_e32 vcc_lo, 30, v4
	s_delay_alu instid0(VALU_DEP_3) | instskip(SKIP_1) | instid1(VALU_DEP_2)
	v_and_or_b32 v1, v1, s2, 0x80000000
	v_cndmask_b32_e64 v7, 0, 1, vcc_lo
	v_ctz_i32_b32_e32 v1, v1
	s_delay_alu instid0(VALU_DEP_2) | instskip(NEXT) | instid1(VALU_DEP_2)
	v_lshlrev_b32_e32 v7, 1, v7
	v_cmp_le_u32_e32 vcc_lo, v6, v1
	s_delay_alu instid0(VALU_DEP_2) | instskip(SKIP_4) | instid1(VALU_DEP_3)
	v_add_lshl_u32 v6, v7, v4, 2
	s_waitcnt lgkmcnt(0)
	v_cndmask_b32_e32 v5, 0, v5, vcc_lo
	v_cmp_gt_u32_e32 vcc_lo, 28, v4
	v_add_nc_u32_e32 v7, 2, v4
	v_add_nc_u32_e32 v0, v5, v0
	ds_bpermute_b32 v5, v6, v0
	v_cndmask_b32_e64 v6, 0, 1, vcc_lo
	v_cmp_le_u32_e32 vcc_lo, v7, v1
	v_add_nc_u32_e32 v7, 4, v4
	s_delay_alu instid0(VALU_DEP_3) | instskip(NEXT) | instid1(VALU_DEP_1)
	v_lshlrev_b32_e32 v6, 2, v6
	v_add_lshl_u32 v6, v6, v4, 2
	s_waitcnt lgkmcnt(0)
	v_cndmask_b32_e32 v5, 0, v5, vcc_lo
	v_cmp_gt_u32_e32 vcc_lo, 24, v4
	s_delay_alu instid0(VALU_DEP_2) | instskip(SKIP_4) | instid1(VALU_DEP_3)
	v_add_nc_u32_e32 v0, v0, v5
	ds_bpermute_b32 v5, v6, v0
	v_cndmask_b32_e64 v6, 0, 1, vcc_lo
	v_cmp_le_u32_e32 vcc_lo, v7, v1
	v_add_nc_u32_e32 v7, 8, v4
	v_lshlrev_b32_e32 v6, 3, v6
	s_delay_alu instid0(VALU_DEP_1) | instskip(SKIP_3) | instid1(VALU_DEP_2)
	v_add_lshl_u32 v6, v6, v4, 2
	s_waitcnt lgkmcnt(0)
	v_cndmask_b32_e32 v5, 0, v5, vcc_lo
	v_cmp_gt_u32_e32 vcc_lo, 16, v4
	v_add_nc_u32_e32 v0, v0, v5
	ds_bpermute_b32 v5, v6, v0
	v_cndmask_b32_e64 v6, 0, 1, vcc_lo
	v_cmp_le_u32_e32 vcc_lo, v7, v1
	s_delay_alu instid0(VALU_DEP_2) | instskip(NEXT) | instid1(VALU_DEP_1)
	v_lshlrev_b32_e32 v6, 4, v6
	v_add_lshl_u32 v6, v6, v4, 2
	s_waitcnt lgkmcnt(0)
	v_dual_cndmask_b32 v5, 0, v5 :: v_dual_add_nc_u32 v4, 16, v4
	s_delay_alu instid0(VALU_DEP_1) | instskip(NEXT) | instid1(VALU_DEP_2)
	v_cmp_le_u32_e32 vcc_lo, v4, v1
	v_add_nc_u32_e32 v0, v0, v5
	ds_bpermute_b32 v5, v6, v0
	s_waitcnt lgkmcnt(0)
	v_cndmask_b32_e32 v1, 0, v5, vcc_lo
	s_delay_alu instid0(VALU_DEP_1)
	v_add_nc_u32_e32 v4, v0, v1
	v_add_co_u32 v0, vcc_lo, s0, v2
	v_add_co_ci_u32_e32 v1, vcc_lo, s1, v3, vcc_lo
	global_store_b32 v[0:1], v4, off
	s_nop 0
	s_sendmsg sendmsg(MSG_DEALLOC_VGPRS)
	s_endpgm
	.section	.rodata,"a",@progbits
	.p2align	6, 0x0
	.amdhsa_kernel _Z33head_segmented_warp_reduce_kernelIihLj128ELj32EENSt9enable_ifIXsr10test_utilsE35device_test_enabled_for_warp_size_vIXT2_EEEvE4typeEPT_PT0_S4_
		.amdhsa_group_segment_fixed_size 0
		.amdhsa_private_segment_fixed_size 0
		.amdhsa_kernarg_size 280
		.amdhsa_user_sgpr_count 15
		.amdhsa_user_sgpr_dispatch_ptr 0
		.amdhsa_user_sgpr_queue_ptr 0
		.amdhsa_user_sgpr_kernarg_segment_ptr 1
		.amdhsa_user_sgpr_dispatch_id 0
		.amdhsa_user_sgpr_private_segment_size 0
		.amdhsa_wavefront_size32 1
		.amdhsa_uses_dynamic_stack 0
		.amdhsa_enable_private_segment 0
		.amdhsa_system_sgpr_workgroup_id_x 1
		.amdhsa_system_sgpr_workgroup_id_y 0
		.amdhsa_system_sgpr_workgroup_id_z 0
		.amdhsa_system_sgpr_workgroup_info 0
		.amdhsa_system_vgpr_workitem_id 0
		.amdhsa_next_free_vgpr 8
		.amdhsa_next_free_sgpr 16
		.amdhsa_reserve_vcc 1
		.amdhsa_float_round_mode_32 0
		.amdhsa_float_round_mode_16_64 0
		.amdhsa_float_denorm_mode_32 3
		.amdhsa_float_denorm_mode_16_64 3
		.amdhsa_dx10_clamp 1
		.amdhsa_ieee_mode 1
		.amdhsa_fp16_overflow 0
		.amdhsa_workgroup_processor_mode 1
		.amdhsa_memory_ordered 1
		.amdhsa_forward_progress 0
		.amdhsa_shared_vgpr_count 0
		.amdhsa_exception_fp_ieee_invalid_op 0
		.amdhsa_exception_fp_denorm_src 0
		.amdhsa_exception_fp_ieee_div_zero 0
		.amdhsa_exception_fp_ieee_overflow 0
		.amdhsa_exception_fp_ieee_underflow 0
		.amdhsa_exception_fp_ieee_inexact 0
		.amdhsa_exception_int_div_zero 0
	.end_amdhsa_kernel
	.section	.text._Z33head_segmented_warp_reduce_kernelIihLj128ELj32EENSt9enable_ifIXsr10test_utilsE35device_test_enabled_for_warp_size_vIXT2_EEEvE4typeEPT_PT0_S4_,"axG",@progbits,_Z33head_segmented_warp_reduce_kernelIihLj128ELj32EENSt9enable_ifIXsr10test_utilsE35device_test_enabled_for_warp_size_vIXT2_EEEvE4typeEPT_PT0_S4_,comdat
.Lfunc_end182:
	.size	_Z33head_segmented_warp_reduce_kernelIihLj128ELj32EENSt9enable_ifIXsr10test_utilsE35device_test_enabled_for_warp_size_vIXT2_EEEvE4typeEPT_PT0_S4_, .Lfunc_end182-_Z33head_segmented_warp_reduce_kernelIihLj128ELj32EENSt9enable_ifIXsr10test_utilsE35device_test_enabled_for_warp_size_vIXT2_EEEvE4typeEPT_PT0_S4_
                                        ; -- End function
	.section	.AMDGPU.csdata,"",@progbits
; Kernel info:
; codeLenInByte = 464
; NumSgprs: 18
; NumVgprs: 8
; ScratchSize: 0
; MemoryBound: 0
; FloatMode: 240
; IeeeMode: 1
; LDSByteSize: 0 bytes/workgroup (compile time only)
; SGPRBlocks: 2
; VGPRBlocks: 0
; NumSGPRsForWavesPerEU: 18
; NumVGPRsForWavesPerEU: 8
; Occupancy: 16
; WaveLimiterHint : 0
; COMPUTE_PGM_RSRC2:SCRATCH_EN: 0
; COMPUTE_PGM_RSRC2:USER_SGPR: 15
; COMPUTE_PGM_RSRC2:TRAP_HANDLER: 0
; COMPUTE_PGM_RSRC2:TGID_X_EN: 1
; COMPUTE_PGM_RSRC2:TGID_Y_EN: 0
; COMPUTE_PGM_RSRC2:TGID_Z_EN: 0
; COMPUTE_PGM_RSRC2:TIDIG_COMP_CNT: 0
	.section	.text._Z33head_segmented_warp_reduce_kernelIihLj64ELj16EENSt9enable_ifIXsr10test_utilsE35device_test_enabled_for_warp_size_vIXT2_EEEvE4typeEPT_PT0_S4_,"axG",@progbits,_Z33head_segmented_warp_reduce_kernelIihLj64ELj16EENSt9enable_ifIXsr10test_utilsE35device_test_enabled_for_warp_size_vIXT2_EEEvE4typeEPT_PT0_S4_,comdat
	.protected	_Z33head_segmented_warp_reduce_kernelIihLj64ELj16EENSt9enable_ifIXsr10test_utilsE35device_test_enabled_for_warp_size_vIXT2_EEEvE4typeEPT_PT0_S4_ ; -- Begin function _Z33head_segmented_warp_reduce_kernelIihLj64ELj16EENSt9enable_ifIXsr10test_utilsE35device_test_enabled_for_warp_size_vIXT2_EEEvE4typeEPT_PT0_S4_
	.globl	_Z33head_segmented_warp_reduce_kernelIihLj64ELj16EENSt9enable_ifIXsr10test_utilsE35device_test_enabled_for_warp_size_vIXT2_EEEvE4typeEPT_PT0_S4_
	.p2align	8
	.type	_Z33head_segmented_warp_reduce_kernelIihLj64ELj16EENSt9enable_ifIXsr10test_utilsE35device_test_enabled_for_warp_size_vIXT2_EEEvE4typeEPT_PT0_S4_,@function
_Z33head_segmented_warp_reduce_kernelIihLj64ELj16EENSt9enable_ifIXsr10test_utilsE35device_test_enabled_for_warp_size_vIXT2_EEEvE4typeEPT_PT0_S4_: ; @_Z33head_segmented_warp_reduce_kernelIihLj64ELj16EENSt9enable_ifIXsr10test_utilsE35device_test_enabled_for_warp_size_vIXT2_EEEvE4typeEPT_PT0_S4_
; %bb.0:
	s_clause 0x2
	s_load_b32 s2, s[0:1], 0x24
	s_load_b128 s[4:7], s[0:1], 0x0
	s_load_b64 s[0:1], s[0:1], 0x10
	s_waitcnt lgkmcnt(0)
	s_and_b32 s2, s2, 0xffff
	s_delay_alu instid0(SALU_CYCLE_1) | instskip(SKIP_1) | instid1(VALU_DEP_1)
	v_mad_u64_u32 v[1:2], null, s15, s2, v[0:1]
	v_mov_b32_e32 v2, 0
	v_lshlrev_b64 v[2:3], 2, v[1:2]
	global_load_u8 v4, v1, s[6:7]
	v_add_co_u32 v0, vcc_lo, s4, v2
	v_add_co_ci_u32_e32 v1, vcc_lo, s5, v3, vcc_lo
	global_load_b32 v0, v[0:1], off
	v_mbcnt_lo_u32_b32 v1, -1, 0
	s_delay_alu instid0(VALU_DEP_1) | instskip(NEXT) | instid1(VALU_DEP_1)
	v_and_b32_e32 v5, 15, v1
	v_cmp_ne_u32_e32 vcc_lo, 15, v5
	v_add_nc_u32_e32 v8, 2, v5
	v_add_co_ci_u32_e32 v6, vcc_lo, 0, v1, vcc_lo
	s_delay_alu instid0(VALU_DEP_1)
	v_lshlrev_b32_e32 v6, 2, v6
	s_waitcnt vmcnt(1)
	v_cmp_ne_u16_e32 vcc_lo, 0, v4
	v_lshlrev_b32_e64 v4, v1, -1
	s_lshr_b32 s2, vcc_lo, 1
	v_cmp_gt_u32_e32 vcc_lo, 14, v5
	s_delay_alu instid0(VALU_DEP_2) | instskip(SKIP_3) | instid1(VALU_DEP_1)
	v_and_b32_e32 v4, s2, v4
	s_waitcnt vmcnt(0)
	ds_bpermute_b32 v6, v6, v0
	v_and_b32_e32 v7, 16, v1
	v_lshrrev_b32_e32 v4, v7, v4
	v_cndmask_b32_e64 v7, 0, 1, vcc_lo
	s_delay_alu instid0(VALU_DEP_2) | instskip(NEXT) | instid1(VALU_DEP_2)
	v_or_b32_e32 v4, 0x8000, v4
	v_lshlrev_b32_e32 v7, 1, v7
	s_delay_alu instid0(VALU_DEP_2) | instskip(NEXT) | instid1(VALU_DEP_2)
	v_ctz_i32_b32_e32 v4, v4
	v_add_lshl_u32 v7, v7, v1, 2
	s_delay_alu instid0(VALU_DEP_2) | instskip(SKIP_3) | instid1(VALU_DEP_2)
	v_cmp_lt_u32_e32 vcc_lo, v5, v4
	s_waitcnt lgkmcnt(0)
	v_cndmask_b32_e32 v6, 0, v6, vcc_lo
	v_cmp_gt_u32_e32 vcc_lo, 12, v5
	v_add_nc_u32_e32 v0, v6, v0
	ds_bpermute_b32 v6, v7, v0
	v_cndmask_b32_e64 v7, 0, 1, vcc_lo
	v_cmp_le_u32_e32 vcc_lo, v8, v4
	v_add_nc_u32_e32 v8, 4, v5
	s_delay_alu instid0(VALU_DEP_3) | instskip(NEXT) | instid1(VALU_DEP_1)
	v_lshlrev_b32_e32 v7, 2, v7
	v_add_lshl_u32 v7, v7, v1, 2
	s_waitcnt lgkmcnt(0)
	v_cndmask_b32_e32 v6, 0, v6, vcc_lo
	v_cmp_gt_u32_e32 vcc_lo, 8, v5
	v_add_nc_u32_e32 v5, 8, v5
	s_delay_alu instid0(VALU_DEP_3) | instskip(SKIP_3) | instid1(VALU_DEP_2)
	v_add_nc_u32_e32 v0, v0, v6
	ds_bpermute_b32 v6, v7, v0
	v_cndmask_b32_e64 v7, 0, 1, vcc_lo
	v_cmp_le_u32_e32 vcc_lo, v8, v4
	v_lshlrev_b32_e32 v7, 3, v7
	s_delay_alu instid0(VALU_DEP_1) | instskip(SKIP_3) | instid1(VALU_DEP_2)
	v_add_lshl_u32 v1, v7, v1, 2
	s_waitcnt lgkmcnt(0)
	v_cndmask_b32_e32 v6, 0, v6, vcc_lo
	v_cmp_le_u32_e32 vcc_lo, v5, v4
	v_add_nc_u32_e32 v0, v0, v6
	ds_bpermute_b32 v1, v1, v0
	s_waitcnt lgkmcnt(0)
	v_cndmask_b32_e32 v1, 0, v1, vcc_lo
	s_delay_alu instid0(VALU_DEP_1)
	v_add_nc_u32_e32 v4, v0, v1
	v_add_co_u32 v0, vcc_lo, s0, v2
	v_add_co_ci_u32_e32 v1, vcc_lo, s1, v3, vcc_lo
	global_store_b32 v[0:1], v4, off
	s_nop 0
	s_sendmsg sendmsg(MSG_DEALLOC_VGPRS)
	s_endpgm
	.section	.rodata,"a",@progbits
	.p2align	6, 0x0
	.amdhsa_kernel _Z33head_segmented_warp_reduce_kernelIihLj64ELj16EENSt9enable_ifIXsr10test_utilsE35device_test_enabled_for_warp_size_vIXT2_EEEvE4typeEPT_PT0_S4_
		.amdhsa_group_segment_fixed_size 0
		.amdhsa_private_segment_fixed_size 0
		.amdhsa_kernarg_size 280
		.amdhsa_user_sgpr_count 15
		.amdhsa_user_sgpr_dispatch_ptr 0
		.amdhsa_user_sgpr_queue_ptr 0
		.amdhsa_user_sgpr_kernarg_segment_ptr 1
		.amdhsa_user_sgpr_dispatch_id 0
		.amdhsa_user_sgpr_private_segment_size 0
		.amdhsa_wavefront_size32 1
		.amdhsa_uses_dynamic_stack 0
		.amdhsa_enable_private_segment 0
		.amdhsa_system_sgpr_workgroup_id_x 1
		.amdhsa_system_sgpr_workgroup_id_y 0
		.amdhsa_system_sgpr_workgroup_id_z 0
		.amdhsa_system_sgpr_workgroup_info 0
		.amdhsa_system_vgpr_workitem_id 0
		.amdhsa_next_free_vgpr 9
		.amdhsa_next_free_sgpr 16
		.amdhsa_reserve_vcc 1
		.amdhsa_float_round_mode_32 0
		.amdhsa_float_round_mode_16_64 0
		.amdhsa_float_denorm_mode_32 3
		.amdhsa_float_denorm_mode_16_64 3
		.amdhsa_dx10_clamp 1
		.amdhsa_ieee_mode 1
		.amdhsa_fp16_overflow 0
		.amdhsa_workgroup_processor_mode 1
		.amdhsa_memory_ordered 1
		.amdhsa_forward_progress 0
		.amdhsa_shared_vgpr_count 0
		.amdhsa_exception_fp_ieee_invalid_op 0
		.amdhsa_exception_fp_denorm_src 0
		.amdhsa_exception_fp_ieee_div_zero 0
		.amdhsa_exception_fp_ieee_overflow 0
		.amdhsa_exception_fp_ieee_underflow 0
		.amdhsa_exception_fp_ieee_inexact 0
		.amdhsa_exception_int_div_zero 0
	.end_amdhsa_kernel
	.section	.text._Z33head_segmented_warp_reduce_kernelIihLj64ELj16EENSt9enable_ifIXsr10test_utilsE35device_test_enabled_for_warp_size_vIXT2_EEEvE4typeEPT_PT0_S4_,"axG",@progbits,_Z33head_segmented_warp_reduce_kernelIihLj64ELj16EENSt9enable_ifIXsr10test_utilsE35device_test_enabled_for_warp_size_vIXT2_EEEvE4typeEPT_PT0_S4_,comdat
.Lfunc_end183:
	.size	_Z33head_segmented_warp_reduce_kernelIihLj64ELj16EENSt9enable_ifIXsr10test_utilsE35device_test_enabled_for_warp_size_vIXT2_EEEvE4typeEPT_PT0_S4_, .Lfunc_end183-_Z33head_segmented_warp_reduce_kernelIihLj64ELj16EENSt9enable_ifIXsr10test_utilsE35device_test_enabled_for_warp_size_vIXT2_EEEvE4typeEPT_PT0_S4_
                                        ; -- End function
	.section	.AMDGPU.csdata,"",@progbits
; Kernel info:
; codeLenInByte = 416
; NumSgprs: 18
; NumVgprs: 9
; ScratchSize: 0
; MemoryBound: 0
; FloatMode: 240
; IeeeMode: 1
; LDSByteSize: 0 bytes/workgroup (compile time only)
; SGPRBlocks: 2
; VGPRBlocks: 1
; NumSGPRsForWavesPerEU: 18
; NumVGPRsForWavesPerEU: 9
; Occupancy: 16
; WaveLimiterHint : 0
; COMPUTE_PGM_RSRC2:SCRATCH_EN: 0
; COMPUTE_PGM_RSRC2:USER_SGPR: 15
; COMPUTE_PGM_RSRC2:TRAP_HANDLER: 0
; COMPUTE_PGM_RSRC2:TGID_X_EN: 1
; COMPUTE_PGM_RSRC2:TGID_Y_EN: 0
; COMPUTE_PGM_RSRC2:TGID_Z_EN: 0
; COMPUTE_PGM_RSRC2:TIDIG_COMP_CNT: 0
	.section	.text._Z33head_segmented_warp_reduce_kernelIihLj32ELj8EENSt9enable_ifIXsr10test_utilsE35device_test_enabled_for_warp_size_vIXT2_EEEvE4typeEPT_PT0_S4_,"axG",@progbits,_Z33head_segmented_warp_reduce_kernelIihLj32ELj8EENSt9enable_ifIXsr10test_utilsE35device_test_enabled_for_warp_size_vIXT2_EEEvE4typeEPT_PT0_S4_,comdat
	.protected	_Z33head_segmented_warp_reduce_kernelIihLj32ELj8EENSt9enable_ifIXsr10test_utilsE35device_test_enabled_for_warp_size_vIXT2_EEEvE4typeEPT_PT0_S4_ ; -- Begin function _Z33head_segmented_warp_reduce_kernelIihLj32ELj8EENSt9enable_ifIXsr10test_utilsE35device_test_enabled_for_warp_size_vIXT2_EEEvE4typeEPT_PT0_S4_
	.globl	_Z33head_segmented_warp_reduce_kernelIihLj32ELj8EENSt9enable_ifIXsr10test_utilsE35device_test_enabled_for_warp_size_vIXT2_EEEvE4typeEPT_PT0_S4_
	.p2align	8
	.type	_Z33head_segmented_warp_reduce_kernelIihLj32ELj8EENSt9enable_ifIXsr10test_utilsE35device_test_enabled_for_warp_size_vIXT2_EEEvE4typeEPT_PT0_S4_,@function
_Z33head_segmented_warp_reduce_kernelIihLj32ELj8EENSt9enable_ifIXsr10test_utilsE35device_test_enabled_for_warp_size_vIXT2_EEEvE4typeEPT_PT0_S4_: ; @_Z33head_segmented_warp_reduce_kernelIihLj32ELj8EENSt9enable_ifIXsr10test_utilsE35device_test_enabled_for_warp_size_vIXT2_EEEvE4typeEPT_PT0_S4_
; %bb.0:
	s_clause 0x2
	s_load_b32 s2, s[0:1], 0x24
	s_load_b128 s[4:7], s[0:1], 0x0
	s_load_b64 s[0:1], s[0:1], 0x10
	s_waitcnt lgkmcnt(0)
	s_and_b32 s2, s2, 0xffff
	s_delay_alu instid0(SALU_CYCLE_1) | instskip(SKIP_1) | instid1(VALU_DEP_1)
	v_mad_u64_u32 v[1:2], null, s15, s2, v[0:1]
	v_mov_b32_e32 v2, 0
	v_lshlrev_b64 v[2:3], 2, v[1:2]
	global_load_u8 v4, v1, s[6:7]
	v_add_co_u32 v0, vcc_lo, s4, v2
	v_add_co_ci_u32_e32 v1, vcc_lo, s5, v3, vcc_lo
	global_load_b32 v0, v[0:1], off
	v_mbcnt_lo_u32_b32 v1, -1, 0
	s_delay_alu instid0(VALU_DEP_1) | instskip(NEXT) | instid1(VALU_DEP_1)
	v_and_b32_e32 v5, 7, v1
	v_cmp_ne_u32_e32 vcc_lo, 7, v5
	v_add_nc_u32_e32 v8, 2, v5
	v_add_co_ci_u32_e32 v6, vcc_lo, 0, v1, vcc_lo
	s_delay_alu instid0(VALU_DEP_1)
	v_lshlrev_b32_e32 v6, 2, v6
	s_waitcnt vmcnt(1)
	v_cmp_ne_u16_e32 vcc_lo, 0, v4
	v_lshlrev_b32_e64 v4, v1, -1
	s_lshr_b32 s2, vcc_lo, 1
	v_cmp_gt_u32_e32 vcc_lo, 6, v5
	s_delay_alu instid0(VALU_DEP_2) | instskip(SKIP_3) | instid1(VALU_DEP_1)
	v_and_b32_e32 v4, s2, v4
	s_waitcnt vmcnt(0)
	ds_bpermute_b32 v6, v6, v0
	v_and_b32_e32 v7, 24, v1
	v_lshrrev_b32_e32 v4, v7, v4
	v_cndmask_b32_e64 v7, 0, 1, vcc_lo
	s_delay_alu instid0(VALU_DEP_2) | instskip(NEXT) | instid1(VALU_DEP_2)
	v_or_b32_e32 v4, 0x80, v4
	v_lshlrev_b32_e32 v7, 1, v7
	s_delay_alu instid0(VALU_DEP_2) | instskip(NEXT) | instid1(VALU_DEP_2)
	v_ctz_i32_b32_e32 v4, v4
	v_add_lshl_u32 v7, v7, v1, 2
	s_delay_alu instid0(VALU_DEP_2) | instskip(SKIP_4) | instid1(VALU_DEP_3)
	v_cmp_lt_u32_e32 vcc_lo, v5, v4
	s_waitcnt lgkmcnt(0)
	v_cndmask_b32_e32 v6, 0, v6, vcc_lo
	v_cmp_gt_u32_e32 vcc_lo, 4, v5
	v_add_nc_u32_e32 v5, 4, v5
	v_add_nc_u32_e32 v0, v6, v0
	ds_bpermute_b32 v6, v7, v0
	v_cndmask_b32_e64 v7, 0, 1, vcc_lo
	v_cmp_le_u32_e32 vcc_lo, v8, v4
	s_delay_alu instid0(VALU_DEP_2) | instskip(NEXT) | instid1(VALU_DEP_1)
	v_lshlrev_b32_e32 v7, 2, v7
	v_add_lshl_u32 v1, v7, v1, 2
	s_waitcnt lgkmcnt(0)
	v_cndmask_b32_e32 v6, 0, v6, vcc_lo
	v_cmp_le_u32_e32 vcc_lo, v5, v4
	s_delay_alu instid0(VALU_DEP_2) | instskip(SKIP_3) | instid1(VALU_DEP_1)
	v_add_nc_u32_e32 v0, v0, v6
	ds_bpermute_b32 v1, v1, v0
	s_waitcnt lgkmcnt(0)
	v_cndmask_b32_e32 v1, 0, v1, vcc_lo
	v_add_nc_u32_e32 v4, v0, v1
	v_add_co_u32 v0, vcc_lo, s0, v2
	v_add_co_ci_u32_e32 v1, vcc_lo, s1, v3, vcc_lo
	global_store_b32 v[0:1], v4, off
	s_nop 0
	s_sendmsg sendmsg(MSG_DEALLOC_VGPRS)
	s_endpgm
	.section	.rodata,"a",@progbits
	.p2align	6, 0x0
	.amdhsa_kernel _Z33head_segmented_warp_reduce_kernelIihLj32ELj8EENSt9enable_ifIXsr10test_utilsE35device_test_enabled_for_warp_size_vIXT2_EEEvE4typeEPT_PT0_S4_
		.amdhsa_group_segment_fixed_size 0
		.amdhsa_private_segment_fixed_size 0
		.amdhsa_kernarg_size 280
		.amdhsa_user_sgpr_count 15
		.amdhsa_user_sgpr_dispatch_ptr 0
		.amdhsa_user_sgpr_queue_ptr 0
		.amdhsa_user_sgpr_kernarg_segment_ptr 1
		.amdhsa_user_sgpr_dispatch_id 0
		.amdhsa_user_sgpr_private_segment_size 0
		.amdhsa_wavefront_size32 1
		.amdhsa_uses_dynamic_stack 0
		.amdhsa_enable_private_segment 0
		.amdhsa_system_sgpr_workgroup_id_x 1
		.amdhsa_system_sgpr_workgroup_id_y 0
		.amdhsa_system_sgpr_workgroup_id_z 0
		.amdhsa_system_sgpr_workgroup_info 0
		.amdhsa_system_vgpr_workitem_id 0
		.amdhsa_next_free_vgpr 9
		.amdhsa_next_free_sgpr 16
		.amdhsa_reserve_vcc 1
		.amdhsa_float_round_mode_32 0
		.amdhsa_float_round_mode_16_64 0
		.amdhsa_float_denorm_mode_32 3
		.amdhsa_float_denorm_mode_16_64 3
		.amdhsa_dx10_clamp 1
		.amdhsa_ieee_mode 1
		.amdhsa_fp16_overflow 0
		.amdhsa_workgroup_processor_mode 1
		.amdhsa_memory_ordered 1
		.amdhsa_forward_progress 0
		.amdhsa_shared_vgpr_count 0
		.amdhsa_exception_fp_ieee_invalid_op 0
		.amdhsa_exception_fp_denorm_src 0
		.amdhsa_exception_fp_ieee_div_zero 0
		.amdhsa_exception_fp_ieee_overflow 0
		.amdhsa_exception_fp_ieee_underflow 0
		.amdhsa_exception_fp_ieee_inexact 0
		.amdhsa_exception_int_div_zero 0
	.end_amdhsa_kernel
	.section	.text._Z33head_segmented_warp_reduce_kernelIihLj32ELj8EENSt9enable_ifIXsr10test_utilsE35device_test_enabled_for_warp_size_vIXT2_EEEvE4typeEPT_PT0_S4_,"axG",@progbits,_Z33head_segmented_warp_reduce_kernelIihLj32ELj8EENSt9enable_ifIXsr10test_utilsE35device_test_enabled_for_warp_size_vIXT2_EEEvE4typeEPT_PT0_S4_,comdat
.Lfunc_end184:
	.size	_Z33head_segmented_warp_reduce_kernelIihLj32ELj8EENSt9enable_ifIXsr10test_utilsE35device_test_enabled_for_warp_size_vIXT2_EEEvE4typeEPT_PT0_S4_, .Lfunc_end184-_Z33head_segmented_warp_reduce_kernelIihLj32ELj8EENSt9enable_ifIXsr10test_utilsE35device_test_enabled_for_warp_size_vIXT2_EEEvE4typeEPT_PT0_S4_
                                        ; -- End function
	.section	.AMDGPU.csdata,"",@progbits
; Kernel info:
; codeLenInByte = 356
; NumSgprs: 18
; NumVgprs: 9
; ScratchSize: 0
; MemoryBound: 0
; FloatMode: 240
; IeeeMode: 1
; LDSByteSize: 0 bytes/workgroup (compile time only)
; SGPRBlocks: 2
; VGPRBlocks: 1
; NumSGPRsForWavesPerEU: 18
; NumVGPRsForWavesPerEU: 9
; Occupancy: 16
; WaveLimiterHint : 0
; COMPUTE_PGM_RSRC2:SCRATCH_EN: 0
; COMPUTE_PGM_RSRC2:USER_SGPR: 15
; COMPUTE_PGM_RSRC2:TRAP_HANDLER: 0
; COMPUTE_PGM_RSRC2:TGID_X_EN: 1
; COMPUTE_PGM_RSRC2:TGID_Y_EN: 0
; COMPUTE_PGM_RSRC2:TGID_Z_EN: 0
; COMPUTE_PGM_RSRC2:TIDIG_COMP_CNT: 0
	.section	.text._Z33head_segmented_warp_reduce_kernelIihLj64ELj8EENSt9enable_ifIXsr10test_utilsE35device_test_enabled_for_warp_size_vIXT2_EEEvE4typeEPT_PT0_S4_,"axG",@progbits,_Z33head_segmented_warp_reduce_kernelIihLj64ELj8EENSt9enable_ifIXsr10test_utilsE35device_test_enabled_for_warp_size_vIXT2_EEEvE4typeEPT_PT0_S4_,comdat
	.protected	_Z33head_segmented_warp_reduce_kernelIihLj64ELj8EENSt9enable_ifIXsr10test_utilsE35device_test_enabled_for_warp_size_vIXT2_EEEvE4typeEPT_PT0_S4_ ; -- Begin function _Z33head_segmented_warp_reduce_kernelIihLj64ELj8EENSt9enable_ifIXsr10test_utilsE35device_test_enabled_for_warp_size_vIXT2_EEEvE4typeEPT_PT0_S4_
	.globl	_Z33head_segmented_warp_reduce_kernelIihLj64ELj8EENSt9enable_ifIXsr10test_utilsE35device_test_enabled_for_warp_size_vIXT2_EEEvE4typeEPT_PT0_S4_
	.p2align	8
	.type	_Z33head_segmented_warp_reduce_kernelIihLj64ELj8EENSt9enable_ifIXsr10test_utilsE35device_test_enabled_for_warp_size_vIXT2_EEEvE4typeEPT_PT0_S4_,@function
_Z33head_segmented_warp_reduce_kernelIihLj64ELj8EENSt9enable_ifIXsr10test_utilsE35device_test_enabled_for_warp_size_vIXT2_EEEvE4typeEPT_PT0_S4_: ; @_Z33head_segmented_warp_reduce_kernelIihLj64ELj8EENSt9enable_ifIXsr10test_utilsE35device_test_enabled_for_warp_size_vIXT2_EEEvE4typeEPT_PT0_S4_
; %bb.0:
	s_clause 0x2
	s_load_b32 s2, s[0:1], 0x24
	s_load_b128 s[4:7], s[0:1], 0x0
	s_load_b64 s[0:1], s[0:1], 0x10
	s_waitcnt lgkmcnt(0)
	s_and_b32 s2, s2, 0xffff
	s_delay_alu instid0(SALU_CYCLE_1) | instskip(SKIP_1) | instid1(VALU_DEP_1)
	v_mad_u64_u32 v[1:2], null, s15, s2, v[0:1]
	v_mov_b32_e32 v2, 0
	v_lshlrev_b64 v[2:3], 2, v[1:2]
	global_load_u8 v4, v1, s[6:7]
	v_add_co_u32 v0, vcc_lo, s4, v2
	v_add_co_ci_u32_e32 v1, vcc_lo, s5, v3, vcc_lo
	global_load_b32 v0, v[0:1], off
	v_mbcnt_lo_u32_b32 v1, -1, 0
	s_delay_alu instid0(VALU_DEP_1) | instskip(NEXT) | instid1(VALU_DEP_1)
	v_and_b32_e32 v5, 7, v1
	v_cmp_ne_u32_e32 vcc_lo, 7, v5
	v_add_nc_u32_e32 v8, 2, v5
	v_add_co_ci_u32_e32 v6, vcc_lo, 0, v1, vcc_lo
	s_delay_alu instid0(VALU_DEP_1)
	v_lshlrev_b32_e32 v6, 2, v6
	s_waitcnt vmcnt(1)
	v_cmp_ne_u16_e32 vcc_lo, 0, v4
	v_lshlrev_b32_e64 v4, v1, -1
	s_lshr_b32 s2, vcc_lo, 1
	v_cmp_gt_u32_e32 vcc_lo, 6, v5
	s_delay_alu instid0(VALU_DEP_2) | instskip(SKIP_3) | instid1(VALU_DEP_1)
	v_and_b32_e32 v4, s2, v4
	s_waitcnt vmcnt(0)
	ds_bpermute_b32 v6, v6, v0
	v_and_b32_e32 v7, 24, v1
	v_lshrrev_b32_e32 v4, v7, v4
	v_cndmask_b32_e64 v7, 0, 1, vcc_lo
	s_delay_alu instid0(VALU_DEP_2) | instskip(NEXT) | instid1(VALU_DEP_2)
	v_or_b32_e32 v4, 0x80, v4
	v_lshlrev_b32_e32 v7, 1, v7
	s_delay_alu instid0(VALU_DEP_2) | instskip(NEXT) | instid1(VALU_DEP_2)
	v_ctz_i32_b32_e32 v4, v4
	v_add_lshl_u32 v7, v7, v1, 2
	s_delay_alu instid0(VALU_DEP_2) | instskip(SKIP_4) | instid1(VALU_DEP_3)
	v_cmp_lt_u32_e32 vcc_lo, v5, v4
	s_waitcnt lgkmcnt(0)
	v_cndmask_b32_e32 v6, 0, v6, vcc_lo
	v_cmp_gt_u32_e32 vcc_lo, 4, v5
	v_add_nc_u32_e32 v5, 4, v5
	v_add_nc_u32_e32 v0, v6, v0
	ds_bpermute_b32 v6, v7, v0
	v_cndmask_b32_e64 v7, 0, 1, vcc_lo
	v_cmp_le_u32_e32 vcc_lo, v8, v4
	s_delay_alu instid0(VALU_DEP_2) | instskip(NEXT) | instid1(VALU_DEP_1)
	v_lshlrev_b32_e32 v7, 2, v7
	v_add_lshl_u32 v1, v7, v1, 2
	s_waitcnt lgkmcnt(0)
	v_cndmask_b32_e32 v6, 0, v6, vcc_lo
	v_cmp_le_u32_e32 vcc_lo, v5, v4
	s_delay_alu instid0(VALU_DEP_2) | instskip(SKIP_3) | instid1(VALU_DEP_1)
	v_add_nc_u32_e32 v0, v0, v6
	ds_bpermute_b32 v1, v1, v0
	s_waitcnt lgkmcnt(0)
	v_cndmask_b32_e32 v1, 0, v1, vcc_lo
	v_add_nc_u32_e32 v4, v0, v1
	v_add_co_u32 v0, vcc_lo, s0, v2
	v_add_co_ci_u32_e32 v1, vcc_lo, s1, v3, vcc_lo
	global_store_b32 v[0:1], v4, off
	s_nop 0
	s_sendmsg sendmsg(MSG_DEALLOC_VGPRS)
	s_endpgm
	.section	.rodata,"a",@progbits
	.p2align	6, 0x0
	.amdhsa_kernel _Z33head_segmented_warp_reduce_kernelIihLj64ELj8EENSt9enable_ifIXsr10test_utilsE35device_test_enabled_for_warp_size_vIXT2_EEEvE4typeEPT_PT0_S4_
		.amdhsa_group_segment_fixed_size 0
		.amdhsa_private_segment_fixed_size 0
		.amdhsa_kernarg_size 280
		.amdhsa_user_sgpr_count 15
		.amdhsa_user_sgpr_dispatch_ptr 0
		.amdhsa_user_sgpr_queue_ptr 0
		.amdhsa_user_sgpr_kernarg_segment_ptr 1
		.amdhsa_user_sgpr_dispatch_id 0
		.amdhsa_user_sgpr_private_segment_size 0
		.amdhsa_wavefront_size32 1
		.amdhsa_uses_dynamic_stack 0
		.amdhsa_enable_private_segment 0
		.amdhsa_system_sgpr_workgroup_id_x 1
		.amdhsa_system_sgpr_workgroup_id_y 0
		.amdhsa_system_sgpr_workgroup_id_z 0
		.amdhsa_system_sgpr_workgroup_info 0
		.amdhsa_system_vgpr_workitem_id 0
		.amdhsa_next_free_vgpr 9
		.amdhsa_next_free_sgpr 16
		.amdhsa_reserve_vcc 1
		.amdhsa_float_round_mode_32 0
		.amdhsa_float_round_mode_16_64 0
		.amdhsa_float_denorm_mode_32 3
		.amdhsa_float_denorm_mode_16_64 3
		.amdhsa_dx10_clamp 1
		.amdhsa_ieee_mode 1
		.amdhsa_fp16_overflow 0
		.amdhsa_workgroup_processor_mode 1
		.amdhsa_memory_ordered 1
		.amdhsa_forward_progress 0
		.amdhsa_shared_vgpr_count 0
		.amdhsa_exception_fp_ieee_invalid_op 0
		.amdhsa_exception_fp_denorm_src 0
		.amdhsa_exception_fp_ieee_div_zero 0
		.amdhsa_exception_fp_ieee_overflow 0
		.amdhsa_exception_fp_ieee_underflow 0
		.amdhsa_exception_fp_ieee_inexact 0
		.amdhsa_exception_int_div_zero 0
	.end_amdhsa_kernel
	.section	.text._Z33head_segmented_warp_reduce_kernelIihLj64ELj8EENSt9enable_ifIXsr10test_utilsE35device_test_enabled_for_warp_size_vIXT2_EEEvE4typeEPT_PT0_S4_,"axG",@progbits,_Z33head_segmented_warp_reduce_kernelIihLj64ELj8EENSt9enable_ifIXsr10test_utilsE35device_test_enabled_for_warp_size_vIXT2_EEEvE4typeEPT_PT0_S4_,comdat
.Lfunc_end185:
	.size	_Z33head_segmented_warp_reduce_kernelIihLj64ELj8EENSt9enable_ifIXsr10test_utilsE35device_test_enabled_for_warp_size_vIXT2_EEEvE4typeEPT_PT0_S4_, .Lfunc_end185-_Z33head_segmented_warp_reduce_kernelIihLj64ELj8EENSt9enable_ifIXsr10test_utilsE35device_test_enabled_for_warp_size_vIXT2_EEEvE4typeEPT_PT0_S4_
                                        ; -- End function
	.section	.AMDGPU.csdata,"",@progbits
; Kernel info:
; codeLenInByte = 356
; NumSgprs: 18
; NumVgprs: 9
; ScratchSize: 0
; MemoryBound: 0
; FloatMode: 240
; IeeeMode: 1
; LDSByteSize: 0 bytes/workgroup (compile time only)
; SGPRBlocks: 2
; VGPRBlocks: 1
; NumSGPRsForWavesPerEU: 18
; NumVGPRsForWavesPerEU: 9
; Occupancy: 16
; WaveLimiterHint : 0
; COMPUTE_PGM_RSRC2:SCRATCH_EN: 0
; COMPUTE_PGM_RSRC2:USER_SGPR: 15
; COMPUTE_PGM_RSRC2:TRAP_HANDLER: 0
; COMPUTE_PGM_RSRC2:TGID_X_EN: 1
; COMPUTE_PGM_RSRC2:TGID_Y_EN: 0
; COMPUTE_PGM_RSRC2:TGID_Z_EN: 0
; COMPUTE_PGM_RSRC2:TIDIG_COMP_CNT: 0
	.section	.text._Z33head_segmented_warp_reduce_kernelIihLj32ELj4EENSt9enable_ifIXsr10test_utilsE35device_test_enabled_for_warp_size_vIXT2_EEEvE4typeEPT_PT0_S4_,"axG",@progbits,_Z33head_segmented_warp_reduce_kernelIihLj32ELj4EENSt9enable_ifIXsr10test_utilsE35device_test_enabled_for_warp_size_vIXT2_EEEvE4typeEPT_PT0_S4_,comdat
	.protected	_Z33head_segmented_warp_reduce_kernelIihLj32ELj4EENSt9enable_ifIXsr10test_utilsE35device_test_enabled_for_warp_size_vIXT2_EEEvE4typeEPT_PT0_S4_ ; -- Begin function _Z33head_segmented_warp_reduce_kernelIihLj32ELj4EENSt9enable_ifIXsr10test_utilsE35device_test_enabled_for_warp_size_vIXT2_EEEvE4typeEPT_PT0_S4_
	.globl	_Z33head_segmented_warp_reduce_kernelIihLj32ELj4EENSt9enable_ifIXsr10test_utilsE35device_test_enabled_for_warp_size_vIXT2_EEEvE4typeEPT_PT0_S4_
	.p2align	8
	.type	_Z33head_segmented_warp_reduce_kernelIihLj32ELj4EENSt9enable_ifIXsr10test_utilsE35device_test_enabled_for_warp_size_vIXT2_EEEvE4typeEPT_PT0_S4_,@function
_Z33head_segmented_warp_reduce_kernelIihLj32ELj4EENSt9enable_ifIXsr10test_utilsE35device_test_enabled_for_warp_size_vIXT2_EEEvE4typeEPT_PT0_S4_: ; @_Z33head_segmented_warp_reduce_kernelIihLj32ELj4EENSt9enable_ifIXsr10test_utilsE35device_test_enabled_for_warp_size_vIXT2_EEEvE4typeEPT_PT0_S4_
; %bb.0:
	s_clause 0x2
	s_load_b32 s2, s[0:1], 0x24
	s_load_b128 s[4:7], s[0:1], 0x0
	s_load_b64 s[0:1], s[0:1], 0x10
	s_waitcnt lgkmcnt(0)
	s_and_b32 s2, s2, 0xffff
	s_delay_alu instid0(SALU_CYCLE_1) | instskip(SKIP_1) | instid1(VALU_DEP_1)
	v_mad_u64_u32 v[1:2], null, s15, s2, v[0:1]
	v_mov_b32_e32 v2, 0
	v_lshlrev_b64 v[2:3], 2, v[1:2]
	global_load_u8 v4, v1, s[6:7]
	v_add_co_u32 v0, vcc_lo, s4, v2
	v_add_co_ci_u32_e32 v1, vcc_lo, s5, v3, vcc_lo
	global_load_b32 v0, v[0:1], off
	v_mbcnt_lo_u32_b32 v1, -1, 0
	s_delay_alu instid0(VALU_DEP_1) | instskip(NEXT) | instid1(VALU_DEP_1)
	v_and_b32_e32 v5, 3, v1
	v_cmp_ne_u32_e32 vcc_lo, 3, v5
	v_add_co_ci_u32_e32 v6, vcc_lo, 0, v1, vcc_lo
	s_delay_alu instid0(VALU_DEP_1)
	v_lshlrev_b32_e32 v6, 2, v6
	s_waitcnt vmcnt(1)
	v_cmp_ne_u16_e32 vcc_lo, 0, v4
	v_lshlrev_b32_e64 v4, v1, -1
	s_lshr_b32 s2, vcc_lo, 1
	v_cmp_gt_u32_e32 vcc_lo, 2, v5
	s_delay_alu instid0(VALU_DEP_2) | instskip(SKIP_3) | instid1(VALU_DEP_1)
	v_and_b32_e32 v4, s2, v4
	s_waitcnt vmcnt(0)
	ds_bpermute_b32 v6, v6, v0
	v_and_b32_e32 v7, 28, v1
	v_lshrrev_b32_e32 v4, v7, v4
	v_cndmask_b32_e64 v7, 0, 1, vcc_lo
	s_delay_alu instid0(VALU_DEP_2) | instskip(NEXT) | instid1(VALU_DEP_2)
	v_or_b32_e32 v4, 8, v4
	v_lshlrev_b32_e32 v7, 1, v7
	s_delay_alu instid0(VALU_DEP_2) | instskip(NEXT) | instid1(VALU_DEP_2)
	v_ctz_i32_b32_e32 v4, v4
	v_add_lshl_u32 v1, v7, v1, 2
	s_delay_alu instid0(VALU_DEP_2) | instskip(SKIP_2) | instid1(VALU_DEP_1)
	v_cmp_lt_u32_e32 vcc_lo, v5, v4
	s_waitcnt lgkmcnt(0)
	v_dual_cndmask_b32 v6, 0, v6 :: v_dual_add_nc_u32 v5, 2, v5
	v_cmp_le_u32_e32 vcc_lo, v5, v4
	s_delay_alu instid0(VALU_DEP_2) | instskip(SKIP_3) | instid1(VALU_DEP_1)
	v_add_nc_u32_e32 v0, v6, v0
	ds_bpermute_b32 v1, v1, v0
	s_waitcnt lgkmcnt(0)
	v_cndmask_b32_e32 v1, 0, v1, vcc_lo
	v_add_nc_u32_e32 v4, v0, v1
	v_add_co_u32 v0, vcc_lo, s0, v2
	v_add_co_ci_u32_e32 v1, vcc_lo, s1, v3, vcc_lo
	global_store_b32 v[0:1], v4, off
	s_nop 0
	s_sendmsg sendmsg(MSG_DEALLOC_VGPRS)
	s_endpgm
	.section	.rodata,"a",@progbits
	.p2align	6, 0x0
	.amdhsa_kernel _Z33head_segmented_warp_reduce_kernelIihLj32ELj4EENSt9enable_ifIXsr10test_utilsE35device_test_enabled_for_warp_size_vIXT2_EEEvE4typeEPT_PT0_S4_
		.amdhsa_group_segment_fixed_size 0
		.amdhsa_private_segment_fixed_size 0
		.amdhsa_kernarg_size 280
		.amdhsa_user_sgpr_count 15
		.amdhsa_user_sgpr_dispatch_ptr 0
		.amdhsa_user_sgpr_queue_ptr 0
		.amdhsa_user_sgpr_kernarg_segment_ptr 1
		.amdhsa_user_sgpr_dispatch_id 0
		.amdhsa_user_sgpr_private_segment_size 0
		.amdhsa_wavefront_size32 1
		.amdhsa_uses_dynamic_stack 0
		.amdhsa_enable_private_segment 0
		.amdhsa_system_sgpr_workgroup_id_x 1
		.amdhsa_system_sgpr_workgroup_id_y 0
		.amdhsa_system_sgpr_workgroup_id_z 0
		.amdhsa_system_sgpr_workgroup_info 0
		.amdhsa_system_vgpr_workitem_id 0
		.amdhsa_next_free_vgpr 8
		.amdhsa_next_free_sgpr 16
		.amdhsa_reserve_vcc 1
		.amdhsa_float_round_mode_32 0
		.amdhsa_float_round_mode_16_64 0
		.amdhsa_float_denorm_mode_32 3
		.amdhsa_float_denorm_mode_16_64 3
		.amdhsa_dx10_clamp 1
		.amdhsa_ieee_mode 1
		.amdhsa_fp16_overflow 0
		.amdhsa_workgroup_processor_mode 1
		.amdhsa_memory_ordered 1
		.amdhsa_forward_progress 0
		.amdhsa_shared_vgpr_count 0
		.amdhsa_exception_fp_ieee_invalid_op 0
		.amdhsa_exception_fp_denorm_src 0
		.amdhsa_exception_fp_ieee_div_zero 0
		.amdhsa_exception_fp_ieee_overflow 0
		.amdhsa_exception_fp_ieee_underflow 0
		.amdhsa_exception_fp_ieee_inexact 0
		.amdhsa_exception_int_div_zero 0
	.end_amdhsa_kernel
	.section	.text._Z33head_segmented_warp_reduce_kernelIihLj32ELj4EENSt9enable_ifIXsr10test_utilsE35device_test_enabled_for_warp_size_vIXT2_EEEvE4typeEPT_PT0_S4_,"axG",@progbits,_Z33head_segmented_warp_reduce_kernelIihLj32ELj4EENSt9enable_ifIXsr10test_utilsE35device_test_enabled_for_warp_size_vIXT2_EEEvE4typeEPT_PT0_S4_,comdat
.Lfunc_end186:
	.size	_Z33head_segmented_warp_reduce_kernelIihLj32ELj4EENSt9enable_ifIXsr10test_utilsE35device_test_enabled_for_warp_size_vIXT2_EEEvE4typeEPT_PT0_S4_, .Lfunc_end186-_Z33head_segmented_warp_reduce_kernelIihLj32ELj4EENSt9enable_ifIXsr10test_utilsE35device_test_enabled_for_warp_size_vIXT2_EEEvE4typeEPT_PT0_S4_
                                        ; -- End function
	.section	.AMDGPU.csdata,"",@progbits
; Kernel info:
; codeLenInByte = 296
; NumSgprs: 18
; NumVgprs: 8
; ScratchSize: 0
; MemoryBound: 0
; FloatMode: 240
; IeeeMode: 1
; LDSByteSize: 0 bytes/workgroup (compile time only)
; SGPRBlocks: 2
; VGPRBlocks: 0
; NumSGPRsForWavesPerEU: 18
; NumVGPRsForWavesPerEU: 8
; Occupancy: 16
; WaveLimiterHint : 0
; COMPUTE_PGM_RSRC2:SCRATCH_EN: 0
; COMPUTE_PGM_RSRC2:USER_SGPR: 15
; COMPUTE_PGM_RSRC2:TRAP_HANDLER: 0
; COMPUTE_PGM_RSRC2:TGID_X_EN: 1
; COMPUTE_PGM_RSRC2:TGID_Y_EN: 0
; COMPUTE_PGM_RSRC2:TGID_Z_EN: 0
; COMPUTE_PGM_RSRC2:TIDIG_COMP_CNT: 0
	.section	.text._Z33head_segmented_warp_reduce_kernelIihLj64ELj4EENSt9enable_ifIXsr10test_utilsE35device_test_enabled_for_warp_size_vIXT2_EEEvE4typeEPT_PT0_S4_,"axG",@progbits,_Z33head_segmented_warp_reduce_kernelIihLj64ELj4EENSt9enable_ifIXsr10test_utilsE35device_test_enabled_for_warp_size_vIXT2_EEEvE4typeEPT_PT0_S4_,comdat
	.protected	_Z33head_segmented_warp_reduce_kernelIihLj64ELj4EENSt9enable_ifIXsr10test_utilsE35device_test_enabled_for_warp_size_vIXT2_EEEvE4typeEPT_PT0_S4_ ; -- Begin function _Z33head_segmented_warp_reduce_kernelIihLj64ELj4EENSt9enable_ifIXsr10test_utilsE35device_test_enabled_for_warp_size_vIXT2_EEEvE4typeEPT_PT0_S4_
	.globl	_Z33head_segmented_warp_reduce_kernelIihLj64ELj4EENSt9enable_ifIXsr10test_utilsE35device_test_enabled_for_warp_size_vIXT2_EEEvE4typeEPT_PT0_S4_
	.p2align	8
	.type	_Z33head_segmented_warp_reduce_kernelIihLj64ELj4EENSt9enable_ifIXsr10test_utilsE35device_test_enabled_for_warp_size_vIXT2_EEEvE4typeEPT_PT0_S4_,@function
_Z33head_segmented_warp_reduce_kernelIihLj64ELj4EENSt9enable_ifIXsr10test_utilsE35device_test_enabled_for_warp_size_vIXT2_EEEvE4typeEPT_PT0_S4_: ; @_Z33head_segmented_warp_reduce_kernelIihLj64ELj4EENSt9enable_ifIXsr10test_utilsE35device_test_enabled_for_warp_size_vIXT2_EEEvE4typeEPT_PT0_S4_
; %bb.0:
	s_clause 0x2
	s_load_b32 s2, s[0:1], 0x24
	s_load_b128 s[4:7], s[0:1], 0x0
	s_load_b64 s[0:1], s[0:1], 0x10
	s_waitcnt lgkmcnt(0)
	s_and_b32 s2, s2, 0xffff
	s_delay_alu instid0(SALU_CYCLE_1) | instskip(SKIP_1) | instid1(VALU_DEP_1)
	v_mad_u64_u32 v[1:2], null, s15, s2, v[0:1]
	v_mov_b32_e32 v2, 0
	v_lshlrev_b64 v[2:3], 2, v[1:2]
	global_load_u8 v4, v1, s[6:7]
	v_add_co_u32 v0, vcc_lo, s4, v2
	v_add_co_ci_u32_e32 v1, vcc_lo, s5, v3, vcc_lo
	global_load_b32 v0, v[0:1], off
	v_mbcnt_lo_u32_b32 v1, -1, 0
	s_delay_alu instid0(VALU_DEP_1) | instskip(NEXT) | instid1(VALU_DEP_1)
	v_and_b32_e32 v5, 3, v1
	v_cmp_ne_u32_e32 vcc_lo, 3, v5
	v_add_co_ci_u32_e32 v6, vcc_lo, 0, v1, vcc_lo
	s_delay_alu instid0(VALU_DEP_1)
	v_lshlrev_b32_e32 v6, 2, v6
	s_waitcnt vmcnt(1)
	v_cmp_ne_u16_e32 vcc_lo, 0, v4
	v_lshlrev_b32_e64 v4, v1, -1
	s_lshr_b32 s2, vcc_lo, 1
	v_cmp_gt_u32_e32 vcc_lo, 2, v5
	s_delay_alu instid0(VALU_DEP_2) | instskip(SKIP_3) | instid1(VALU_DEP_1)
	v_and_b32_e32 v4, s2, v4
	s_waitcnt vmcnt(0)
	ds_bpermute_b32 v6, v6, v0
	v_and_b32_e32 v7, 28, v1
	v_lshrrev_b32_e32 v4, v7, v4
	v_cndmask_b32_e64 v7, 0, 1, vcc_lo
	s_delay_alu instid0(VALU_DEP_2) | instskip(NEXT) | instid1(VALU_DEP_2)
	v_or_b32_e32 v4, 8, v4
	v_lshlrev_b32_e32 v7, 1, v7
	s_delay_alu instid0(VALU_DEP_2) | instskip(NEXT) | instid1(VALU_DEP_2)
	v_ctz_i32_b32_e32 v4, v4
	v_add_lshl_u32 v1, v7, v1, 2
	s_delay_alu instid0(VALU_DEP_2) | instskip(SKIP_2) | instid1(VALU_DEP_1)
	v_cmp_lt_u32_e32 vcc_lo, v5, v4
	s_waitcnt lgkmcnt(0)
	v_dual_cndmask_b32 v6, 0, v6 :: v_dual_add_nc_u32 v5, 2, v5
	v_cmp_le_u32_e32 vcc_lo, v5, v4
	s_delay_alu instid0(VALU_DEP_2) | instskip(SKIP_3) | instid1(VALU_DEP_1)
	v_add_nc_u32_e32 v0, v6, v0
	ds_bpermute_b32 v1, v1, v0
	s_waitcnt lgkmcnt(0)
	v_cndmask_b32_e32 v1, 0, v1, vcc_lo
	v_add_nc_u32_e32 v4, v0, v1
	v_add_co_u32 v0, vcc_lo, s0, v2
	v_add_co_ci_u32_e32 v1, vcc_lo, s1, v3, vcc_lo
	global_store_b32 v[0:1], v4, off
	s_nop 0
	s_sendmsg sendmsg(MSG_DEALLOC_VGPRS)
	s_endpgm
	.section	.rodata,"a",@progbits
	.p2align	6, 0x0
	.amdhsa_kernel _Z33head_segmented_warp_reduce_kernelIihLj64ELj4EENSt9enable_ifIXsr10test_utilsE35device_test_enabled_for_warp_size_vIXT2_EEEvE4typeEPT_PT0_S4_
		.amdhsa_group_segment_fixed_size 0
		.amdhsa_private_segment_fixed_size 0
		.amdhsa_kernarg_size 280
		.amdhsa_user_sgpr_count 15
		.amdhsa_user_sgpr_dispatch_ptr 0
		.amdhsa_user_sgpr_queue_ptr 0
		.amdhsa_user_sgpr_kernarg_segment_ptr 1
		.amdhsa_user_sgpr_dispatch_id 0
		.amdhsa_user_sgpr_private_segment_size 0
		.amdhsa_wavefront_size32 1
		.amdhsa_uses_dynamic_stack 0
		.amdhsa_enable_private_segment 0
		.amdhsa_system_sgpr_workgroup_id_x 1
		.amdhsa_system_sgpr_workgroup_id_y 0
		.amdhsa_system_sgpr_workgroup_id_z 0
		.amdhsa_system_sgpr_workgroup_info 0
		.amdhsa_system_vgpr_workitem_id 0
		.amdhsa_next_free_vgpr 8
		.amdhsa_next_free_sgpr 16
		.amdhsa_reserve_vcc 1
		.amdhsa_float_round_mode_32 0
		.amdhsa_float_round_mode_16_64 0
		.amdhsa_float_denorm_mode_32 3
		.amdhsa_float_denorm_mode_16_64 3
		.amdhsa_dx10_clamp 1
		.amdhsa_ieee_mode 1
		.amdhsa_fp16_overflow 0
		.amdhsa_workgroup_processor_mode 1
		.amdhsa_memory_ordered 1
		.amdhsa_forward_progress 0
		.amdhsa_shared_vgpr_count 0
		.amdhsa_exception_fp_ieee_invalid_op 0
		.amdhsa_exception_fp_denorm_src 0
		.amdhsa_exception_fp_ieee_div_zero 0
		.amdhsa_exception_fp_ieee_overflow 0
		.amdhsa_exception_fp_ieee_underflow 0
		.amdhsa_exception_fp_ieee_inexact 0
		.amdhsa_exception_int_div_zero 0
	.end_amdhsa_kernel
	.section	.text._Z33head_segmented_warp_reduce_kernelIihLj64ELj4EENSt9enable_ifIXsr10test_utilsE35device_test_enabled_for_warp_size_vIXT2_EEEvE4typeEPT_PT0_S4_,"axG",@progbits,_Z33head_segmented_warp_reduce_kernelIihLj64ELj4EENSt9enable_ifIXsr10test_utilsE35device_test_enabled_for_warp_size_vIXT2_EEEvE4typeEPT_PT0_S4_,comdat
.Lfunc_end187:
	.size	_Z33head_segmented_warp_reduce_kernelIihLj64ELj4EENSt9enable_ifIXsr10test_utilsE35device_test_enabled_for_warp_size_vIXT2_EEEvE4typeEPT_PT0_S4_, .Lfunc_end187-_Z33head_segmented_warp_reduce_kernelIihLj64ELj4EENSt9enable_ifIXsr10test_utilsE35device_test_enabled_for_warp_size_vIXT2_EEEvE4typeEPT_PT0_S4_
                                        ; -- End function
	.section	.AMDGPU.csdata,"",@progbits
; Kernel info:
; codeLenInByte = 296
; NumSgprs: 18
; NumVgprs: 8
; ScratchSize: 0
; MemoryBound: 0
; FloatMode: 240
; IeeeMode: 1
; LDSByteSize: 0 bytes/workgroup (compile time only)
; SGPRBlocks: 2
; VGPRBlocks: 0
; NumSGPRsForWavesPerEU: 18
; NumVGPRsForWavesPerEU: 8
; Occupancy: 16
; WaveLimiterHint : 0
; COMPUTE_PGM_RSRC2:SCRATCH_EN: 0
; COMPUTE_PGM_RSRC2:USER_SGPR: 15
; COMPUTE_PGM_RSRC2:TRAP_HANDLER: 0
; COMPUTE_PGM_RSRC2:TGID_X_EN: 1
; COMPUTE_PGM_RSRC2:TGID_Y_EN: 0
; COMPUTE_PGM_RSRC2:TGID_Z_EN: 0
; COMPUTE_PGM_RSRC2:TIDIG_COMP_CNT: 0
	.section	.text._Z33head_segmented_warp_reduce_kernelIihLj32ELj2EENSt9enable_ifIXsr10test_utilsE35device_test_enabled_for_warp_size_vIXT2_EEEvE4typeEPT_PT0_S4_,"axG",@progbits,_Z33head_segmented_warp_reduce_kernelIihLj32ELj2EENSt9enable_ifIXsr10test_utilsE35device_test_enabled_for_warp_size_vIXT2_EEEvE4typeEPT_PT0_S4_,comdat
	.protected	_Z33head_segmented_warp_reduce_kernelIihLj32ELj2EENSt9enable_ifIXsr10test_utilsE35device_test_enabled_for_warp_size_vIXT2_EEEvE4typeEPT_PT0_S4_ ; -- Begin function _Z33head_segmented_warp_reduce_kernelIihLj32ELj2EENSt9enable_ifIXsr10test_utilsE35device_test_enabled_for_warp_size_vIXT2_EEEvE4typeEPT_PT0_S4_
	.globl	_Z33head_segmented_warp_reduce_kernelIihLj32ELj2EENSt9enable_ifIXsr10test_utilsE35device_test_enabled_for_warp_size_vIXT2_EEEvE4typeEPT_PT0_S4_
	.p2align	8
	.type	_Z33head_segmented_warp_reduce_kernelIihLj32ELj2EENSt9enable_ifIXsr10test_utilsE35device_test_enabled_for_warp_size_vIXT2_EEEvE4typeEPT_PT0_S4_,@function
_Z33head_segmented_warp_reduce_kernelIihLj32ELj2EENSt9enable_ifIXsr10test_utilsE35device_test_enabled_for_warp_size_vIXT2_EEEvE4typeEPT_PT0_S4_: ; @_Z33head_segmented_warp_reduce_kernelIihLj32ELj2EENSt9enable_ifIXsr10test_utilsE35device_test_enabled_for_warp_size_vIXT2_EEEvE4typeEPT_PT0_S4_
; %bb.0:
	s_clause 0x2
	s_load_b32 s2, s[0:1], 0x24
	s_load_b128 s[4:7], s[0:1], 0x0
	s_load_b64 s[0:1], s[0:1], 0x10
	s_waitcnt lgkmcnt(0)
	s_and_b32 s2, s2, 0xffff
	s_delay_alu instid0(SALU_CYCLE_1) | instskip(SKIP_1) | instid1(VALU_DEP_1)
	v_mad_u64_u32 v[1:2], null, s15, s2, v[0:1]
	v_mov_b32_e32 v2, 0
	v_lshlrev_b64 v[2:3], 2, v[1:2]
	global_load_u8 v4, v1, s[6:7]
	v_add_co_u32 v0, vcc_lo, s4, v2
	v_add_co_ci_u32_e32 v1, vcc_lo, s5, v3, vcc_lo
	global_load_b32 v0, v[0:1], off
	v_mbcnt_lo_u32_b32 v1, -1, 0
	s_delay_alu instid0(VALU_DEP_1)
	v_lshl_or_b32 v5, v1, 2, 4
	v_and_b32_e32 v6, 30, v1
	s_waitcnt vmcnt(1)
	v_cmp_ne_u16_e32 vcc_lo, 0, v4
	v_lshlrev_b32_e64 v4, v1, -1
	v_and_b32_e32 v1, 1, v1
	s_lshr_b32 s2, vcc_lo, 1
	s_waitcnt vmcnt(0)
	ds_bpermute_b32 v5, v5, v0
	v_and_b32_e32 v4, s2, v4
	s_delay_alu instid0(VALU_DEP_1) | instskip(NEXT) | instid1(VALU_DEP_1)
	v_lshrrev_b32_e32 v4, v6, v4
	v_or_b32_e32 v4, 2, v4
	s_delay_alu instid0(VALU_DEP_1) | instskip(NEXT) | instid1(VALU_DEP_1)
	v_ctz_i32_b32_e32 v4, v4
	v_cmp_lt_u32_e32 vcc_lo, v1, v4
	s_waitcnt lgkmcnt(0)
	v_cndmask_b32_e32 v1, 0, v5, vcc_lo
	s_delay_alu instid0(VALU_DEP_1)
	v_add_nc_u32_e32 v4, v1, v0
	v_add_co_u32 v0, vcc_lo, s0, v2
	v_add_co_ci_u32_e32 v1, vcc_lo, s1, v3, vcc_lo
	global_store_b32 v[0:1], v4, off
	s_nop 0
	s_sendmsg sendmsg(MSG_DEALLOC_VGPRS)
	s_endpgm
	.section	.rodata,"a",@progbits
	.p2align	6, 0x0
	.amdhsa_kernel _Z33head_segmented_warp_reduce_kernelIihLj32ELj2EENSt9enable_ifIXsr10test_utilsE35device_test_enabled_for_warp_size_vIXT2_EEEvE4typeEPT_PT0_S4_
		.amdhsa_group_segment_fixed_size 0
		.amdhsa_private_segment_fixed_size 0
		.amdhsa_kernarg_size 280
		.amdhsa_user_sgpr_count 15
		.amdhsa_user_sgpr_dispatch_ptr 0
		.amdhsa_user_sgpr_queue_ptr 0
		.amdhsa_user_sgpr_kernarg_segment_ptr 1
		.amdhsa_user_sgpr_dispatch_id 0
		.amdhsa_user_sgpr_private_segment_size 0
		.amdhsa_wavefront_size32 1
		.amdhsa_uses_dynamic_stack 0
		.amdhsa_enable_private_segment 0
		.amdhsa_system_sgpr_workgroup_id_x 1
		.amdhsa_system_sgpr_workgroup_id_y 0
		.amdhsa_system_sgpr_workgroup_id_z 0
		.amdhsa_system_sgpr_workgroup_info 0
		.amdhsa_system_vgpr_workitem_id 0
		.amdhsa_next_free_vgpr 7
		.amdhsa_next_free_sgpr 16
		.amdhsa_reserve_vcc 1
		.amdhsa_float_round_mode_32 0
		.amdhsa_float_round_mode_16_64 0
		.amdhsa_float_denorm_mode_32 3
		.amdhsa_float_denorm_mode_16_64 3
		.amdhsa_dx10_clamp 1
		.amdhsa_ieee_mode 1
		.amdhsa_fp16_overflow 0
		.amdhsa_workgroup_processor_mode 1
		.amdhsa_memory_ordered 1
		.amdhsa_forward_progress 0
		.amdhsa_shared_vgpr_count 0
		.amdhsa_exception_fp_ieee_invalid_op 0
		.amdhsa_exception_fp_denorm_src 0
		.amdhsa_exception_fp_ieee_div_zero 0
		.amdhsa_exception_fp_ieee_overflow 0
		.amdhsa_exception_fp_ieee_underflow 0
		.amdhsa_exception_fp_ieee_inexact 0
		.amdhsa_exception_int_div_zero 0
	.end_amdhsa_kernel
	.section	.text._Z33head_segmented_warp_reduce_kernelIihLj32ELj2EENSt9enable_ifIXsr10test_utilsE35device_test_enabled_for_warp_size_vIXT2_EEEvE4typeEPT_PT0_S4_,"axG",@progbits,_Z33head_segmented_warp_reduce_kernelIihLj32ELj2EENSt9enable_ifIXsr10test_utilsE35device_test_enabled_for_warp_size_vIXT2_EEEvE4typeEPT_PT0_S4_,comdat
.Lfunc_end188:
	.size	_Z33head_segmented_warp_reduce_kernelIihLj32ELj2EENSt9enable_ifIXsr10test_utilsE35device_test_enabled_for_warp_size_vIXT2_EEEvE4typeEPT_PT0_S4_, .Lfunc_end188-_Z33head_segmented_warp_reduce_kernelIihLj32ELj2EENSt9enable_ifIXsr10test_utilsE35device_test_enabled_for_warp_size_vIXT2_EEEvE4typeEPT_PT0_S4_
                                        ; -- End function
	.section	.AMDGPU.csdata,"",@progbits
; Kernel info:
; codeLenInByte = 228
; NumSgprs: 18
; NumVgprs: 7
; ScratchSize: 0
; MemoryBound: 0
; FloatMode: 240
; IeeeMode: 1
; LDSByteSize: 0 bytes/workgroup (compile time only)
; SGPRBlocks: 2
; VGPRBlocks: 0
; NumSGPRsForWavesPerEU: 18
; NumVGPRsForWavesPerEU: 7
; Occupancy: 16
; WaveLimiterHint : 0
; COMPUTE_PGM_RSRC2:SCRATCH_EN: 0
; COMPUTE_PGM_RSRC2:USER_SGPR: 15
; COMPUTE_PGM_RSRC2:TRAP_HANDLER: 0
; COMPUTE_PGM_RSRC2:TGID_X_EN: 1
; COMPUTE_PGM_RSRC2:TGID_Y_EN: 0
; COMPUTE_PGM_RSRC2:TGID_Z_EN: 0
; COMPUTE_PGM_RSRC2:TIDIG_COMP_CNT: 0
	.section	.text._Z33head_segmented_warp_reduce_kernelIihLj64ELj2EENSt9enable_ifIXsr10test_utilsE35device_test_enabled_for_warp_size_vIXT2_EEEvE4typeEPT_PT0_S4_,"axG",@progbits,_Z33head_segmented_warp_reduce_kernelIihLj64ELj2EENSt9enable_ifIXsr10test_utilsE35device_test_enabled_for_warp_size_vIXT2_EEEvE4typeEPT_PT0_S4_,comdat
	.protected	_Z33head_segmented_warp_reduce_kernelIihLj64ELj2EENSt9enable_ifIXsr10test_utilsE35device_test_enabled_for_warp_size_vIXT2_EEEvE4typeEPT_PT0_S4_ ; -- Begin function _Z33head_segmented_warp_reduce_kernelIihLj64ELj2EENSt9enable_ifIXsr10test_utilsE35device_test_enabled_for_warp_size_vIXT2_EEEvE4typeEPT_PT0_S4_
	.globl	_Z33head_segmented_warp_reduce_kernelIihLj64ELj2EENSt9enable_ifIXsr10test_utilsE35device_test_enabled_for_warp_size_vIXT2_EEEvE4typeEPT_PT0_S4_
	.p2align	8
	.type	_Z33head_segmented_warp_reduce_kernelIihLj64ELj2EENSt9enable_ifIXsr10test_utilsE35device_test_enabled_for_warp_size_vIXT2_EEEvE4typeEPT_PT0_S4_,@function
_Z33head_segmented_warp_reduce_kernelIihLj64ELj2EENSt9enable_ifIXsr10test_utilsE35device_test_enabled_for_warp_size_vIXT2_EEEvE4typeEPT_PT0_S4_: ; @_Z33head_segmented_warp_reduce_kernelIihLj64ELj2EENSt9enable_ifIXsr10test_utilsE35device_test_enabled_for_warp_size_vIXT2_EEEvE4typeEPT_PT0_S4_
; %bb.0:
	s_clause 0x2
	s_load_b32 s2, s[0:1], 0x24
	s_load_b128 s[4:7], s[0:1], 0x0
	s_load_b64 s[0:1], s[0:1], 0x10
	s_waitcnt lgkmcnt(0)
	s_and_b32 s2, s2, 0xffff
	s_delay_alu instid0(SALU_CYCLE_1) | instskip(SKIP_1) | instid1(VALU_DEP_1)
	v_mad_u64_u32 v[1:2], null, s15, s2, v[0:1]
	v_mov_b32_e32 v2, 0
	v_lshlrev_b64 v[2:3], 2, v[1:2]
	global_load_u8 v4, v1, s[6:7]
	v_add_co_u32 v0, vcc_lo, s4, v2
	v_add_co_ci_u32_e32 v1, vcc_lo, s5, v3, vcc_lo
	global_load_b32 v0, v[0:1], off
	v_mbcnt_lo_u32_b32 v1, -1, 0
	s_delay_alu instid0(VALU_DEP_1)
	v_lshl_or_b32 v5, v1, 2, 4
	v_and_b32_e32 v6, 30, v1
	s_waitcnt vmcnt(1)
	v_cmp_ne_u16_e32 vcc_lo, 0, v4
	v_lshlrev_b32_e64 v4, v1, -1
	v_and_b32_e32 v1, 1, v1
	s_lshr_b32 s2, vcc_lo, 1
	s_waitcnt vmcnt(0)
	ds_bpermute_b32 v5, v5, v0
	v_and_b32_e32 v4, s2, v4
	s_delay_alu instid0(VALU_DEP_1) | instskip(NEXT) | instid1(VALU_DEP_1)
	v_lshrrev_b32_e32 v4, v6, v4
	v_or_b32_e32 v4, 2, v4
	s_delay_alu instid0(VALU_DEP_1) | instskip(NEXT) | instid1(VALU_DEP_1)
	v_ctz_i32_b32_e32 v4, v4
	v_cmp_lt_u32_e32 vcc_lo, v1, v4
	s_waitcnt lgkmcnt(0)
	v_cndmask_b32_e32 v1, 0, v5, vcc_lo
	s_delay_alu instid0(VALU_DEP_1)
	v_add_nc_u32_e32 v4, v1, v0
	v_add_co_u32 v0, vcc_lo, s0, v2
	v_add_co_ci_u32_e32 v1, vcc_lo, s1, v3, vcc_lo
	global_store_b32 v[0:1], v4, off
	s_nop 0
	s_sendmsg sendmsg(MSG_DEALLOC_VGPRS)
	s_endpgm
	.section	.rodata,"a",@progbits
	.p2align	6, 0x0
	.amdhsa_kernel _Z33head_segmented_warp_reduce_kernelIihLj64ELj2EENSt9enable_ifIXsr10test_utilsE35device_test_enabled_for_warp_size_vIXT2_EEEvE4typeEPT_PT0_S4_
		.amdhsa_group_segment_fixed_size 0
		.amdhsa_private_segment_fixed_size 0
		.amdhsa_kernarg_size 280
		.amdhsa_user_sgpr_count 15
		.amdhsa_user_sgpr_dispatch_ptr 0
		.amdhsa_user_sgpr_queue_ptr 0
		.amdhsa_user_sgpr_kernarg_segment_ptr 1
		.amdhsa_user_sgpr_dispatch_id 0
		.amdhsa_user_sgpr_private_segment_size 0
		.amdhsa_wavefront_size32 1
		.amdhsa_uses_dynamic_stack 0
		.amdhsa_enable_private_segment 0
		.amdhsa_system_sgpr_workgroup_id_x 1
		.amdhsa_system_sgpr_workgroup_id_y 0
		.amdhsa_system_sgpr_workgroup_id_z 0
		.amdhsa_system_sgpr_workgroup_info 0
		.amdhsa_system_vgpr_workitem_id 0
		.amdhsa_next_free_vgpr 7
		.amdhsa_next_free_sgpr 16
		.amdhsa_reserve_vcc 1
		.amdhsa_float_round_mode_32 0
		.amdhsa_float_round_mode_16_64 0
		.amdhsa_float_denorm_mode_32 3
		.amdhsa_float_denorm_mode_16_64 3
		.amdhsa_dx10_clamp 1
		.amdhsa_ieee_mode 1
		.amdhsa_fp16_overflow 0
		.amdhsa_workgroup_processor_mode 1
		.amdhsa_memory_ordered 1
		.amdhsa_forward_progress 0
		.amdhsa_shared_vgpr_count 0
		.amdhsa_exception_fp_ieee_invalid_op 0
		.amdhsa_exception_fp_denorm_src 0
		.amdhsa_exception_fp_ieee_div_zero 0
		.amdhsa_exception_fp_ieee_overflow 0
		.amdhsa_exception_fp_ieee_underflow 0
		.amdhsa_exception_fp_ieee_inexact 0
		.amdhsa_exception_int_div_zero 0
	.end_amdhsa_kernel
	.section	.text._Z33head_segmented_warp_reduce_kernelIihLj64ELj2EENSt9enable_ifIXsr10test_utilsE35device_test_enabled_for_warp_size_vIXT2_EEEvE4typeEPT_PT0_S4_,"axG",@progbits,_Z33head_segmented_warp_reduce_kernelIihLj64ELj2EENSt9enable_ifIXsr10test_utilsE35device_test_enabled_for_warp_size_vIXT2_EEEvE4typeEPT_PT0_S4_,comdat
.Lfunc_end189:
	.size	_Z33head_segmented_warp_reduce_kernelIihLj64ELj2EENSt9enable_ifIXsr10test_utilsE35device_test_enabled_for_warp_size_vIXT2_EEEvE4typeEPT_PT0_S4_, .Lfunc_end189-_Z33head_segmented_warp_reduce_kernelIihLj64ELj2EENSt9enable_ifIXsr10test_utilsE35device_test_enabled_for_warp_size_vIXT2_EEEvE4typeEPT_PT0_S4_
                                        ; -- End function
	.section	.AMDGPU.csdata,"",@progbits
; Kernel info:
; codeLenInByte = 228
; NumSgprs: 18
; NumVgprs: 7
; ScratchSize: 0
; MemoryBound: 0
; FloatMode: 240
; IeeeMode: 1
; LDSByteSize: 0 bytes/workgroup (compile time only)
; SGPRBlocks: 2
; VGPRBlocks: 0
; NumSGPRsForWavesPerEU: 18
; NumVGPRsForWavesPerEU: 7
; Occupancy: 16
; WaveLimiterHint : 0
; COMPUTE_PGM_RSRC2:SCRATCH_EN: 0
; COMPUTE_PGM_RSRC2:USER_SGPR: 15
; COMPUTE_PGM_RSRC2:TRAP_HANDLER: 0
; COMPUTE_PGM_RSRC2:TGID_X_EN: 1
; COMPUTE_PGM_RSRC2:TGID_Y_EN: 0
; COMPUTE_PGM_RSRC2:TGID_Z_EN: 0
; COMPUTE_PGM_RSRC2:TIDIG_COMP_CNT: 0
	.section	.text._Z33head_segmented_warp_reduce_kernelIihLj32ELj1EENSt9enable_ifIXsr10test_utilsE35device_test_enabled_for_warp_size_vIXT2_EEEvE4typeEPT_PT0_S4_,"axG",@progbits,_Z33head_segmented_warp_reduce_kernelIihLj32ELj1EENSt9enable_ifIXsr10test_utilsE35device_test_enabled_for_warp_size_vIXT2_EEEvE4typeEPT_PT0_S4_,comdat
	.protected	_Z33head_segmented_warp_reduce_kernelIihLj32ELj1EENSt9enable_ifIXsr10test_utilsE35device_test_enabled_for_warp_size_vIXT2_EEEvE4typeEPT_PT0_S4_ ; -- Begin function _Z33head_segmented_warp_reduce_kernelIihLj32ELj1EENSt9enable_ifIXsr10test_utilsE35device_test_enabled_for_warp_size_vIXT2_EEEvE4typeEPT_PT0_S4_
	.globl	_Z33head_segmented_warp_reduce_kernelIihLj32ELj1EENSt9enable_ifIXsr10test_utilsE35device_test_enabled_for_warp_size_vIXT2_EEEvE4typeEPT_PT0_S4_
	.p2align	8
	.type	_Z33head_segmented_warp_reduce_kernelIihLj32ELj1EENSt9enable_ifIXsr10test_utilsE35device_test_enabled_for_warp_size_vIXT2_EEEvE4typeEPT_PT0_S4_,@function
_Z33head_segmented_warp_reduce_kernelIihLj32ELj1EENSt9enable_ifIXsr10test_utilsE35device_test_enabled_for_warp_size_vIXT2_EEEvE4typeEPT_PT0_S4_: ; @_Z33head_segmented_warp_reduce_kernelIihLj32ELj1EENSt9enable_ifIXsr10test_utilsE35device_test_enabled_for_warp_size_vIXT2_EEEvE4typeEPT_PT0_S4_
; %bb.0:
	s_clause 0x2
	s_load_b32 s4, s[0:1], 0x24
	s_load_b64 s[2:3], s[0:1], 0x0
	s_load_b64 s[0:1], s[0:1], 0x10
	s_waitcnt lgkmcnt(0)
	s_and_b32 s4, s4, 0xffff
	s_delay_alu instid0(SALU_CYCLE_1) | instskip(SKIP_1) | instid1(VALU_DEP_1)
	v_mad_u64_u32 v[1:2], null, s15, s4, v[0:1]
	v_mov_b32_e32 v2, 0
	v_lshlrev_b64 v[0:1], 2, v[1:2]
	s_delay_alu instid0(VALU_DEP_1) | instskip(NEXT) | instid1(VALU_DEP_2)
	v_add_co_u32 v2, vcc_lo, s2, v0
	v_add_co_ci_u32_e32 v3, vcc_lo, s3, v1, vcc_lo
	v_add_co_u32 v0, vcc_lo, s0, v0
	v_add_co_ci_u32_e32 v1, vcc_lo, s1, v1, vcc_lo
	global_load_b32 v2, v[2:3], off
	s_waitcnt vmcnt(0)
	global_store_b32 v[0:1], v2, off
	s_nop 0
	s_sendmsg sendmsg(MSG_DEALLOC_VGPRS)
	s_endpgm
	.section	.rodata,"a",@progbits
	.p2align	6, 0x0
	.amdhsa_kernel _Z33head_segmented_warp_reduce_kernelIihLj32ELj1EENSt9enable_ifIXsr10test_utilsE35device_test_enabled_for_warp_size_vIXT2_EEEvE4typeEPT_PT0_S4_
		.amdhsa_group_segment_fixed_size 0
		.amdhsa_private_segment_fixed_size 0
		.amdhsa_kernarg_size 280
		.amdhsa_user_sgpr_count 15
		.amdhsa_user_sgpr_dispatch_ptr 0
		.amdhsa_user_sgpr_queue_ptr 0
		.amdhsa_user_sgpr_kernarg_segment_ptr 1
		.amdhsa_user_sgpr_dispatch_id 0
		.amdhsa_user_sgpr_private_segment_size 0
		.amdhsa_wavefront_size32 1
		.amdhsa_uses_dynamic_stack 0
		.amdhsa_enable_private_segment 0
		.amdhsa_system_sgpr_workgroup_id_x 1
		.amdhsa_system_sgpr_workgroup_id_y 0
		.amdhsa_system_sgpr_workgroup_id_z 0
		.amdhsa_system_sgpr_workgroup_info 0
		.amdhsa_system_vgpr_workitem_id 0
		.amdhsa_next_free_vgpr 4
		.amdhsa_next_free_sgpr 16
		.amdhsa_reserve_vcc 1
		.amdhsa_float_round_mode_32 0
		.amdhsa_float_round_mode_16_64 0
		.amdhsa_float_denorm_mode_32 3
		.amdhsa_float_denorm_mode_16_64 3
		.amdhsa_dx10_clamp 1
		.amdhsa_ieee_mode 1
		.amdhsa_fp16_overflow 0
		.amdhsa_workgroup_processor_mode 1
		.amdhsa_memory_ordered 1
		.amdhsa_forward_progress 0
		.amdhsa_shared_vgpr_count 0
		.amdhsa_exception_fp_ieee_invalid_op 0
		.amdhsa_exception_fp_denorm_src 0
		.amdhsa_exception_fp_ieee_div_zero 0
		.amdhsa_exception_fp_ieee_overflow 0
		.amdhsa_exception_fp_ieee_underflow 0
		.amdhsa_exception_fp_ieee_inexact 0
		.amdhsa_exception_int_div_zero 0
	.end_amdhsa_kernel
	.section	.text._Z33head_segmented_warp_reduce_kernelIihLj32ELj1EENSt9enable_ifIXsr10test_utilsE35device_test_enabled_for_warp_size_vIXT2_EEEvE4typeEPT_PT0_S4_,"axG",@progbits,_Z33head_segmented_warp_reduce_kernelIihLj32ELj1EENSt9enable_ifIXsr10test_utilsE35device_test_enabled_for_warp_size_vIXT2_EEEvE4typeEPT_PT0_S4_,comdat
.Lfunc_end190:
	.size	_Z33head_segmented_warp_reduce_kernelIihLj32ELj1EENSt9enable_ifIXsr10test_utilsE35device_test_enabled_for_warp_size_vIXT2_EEEvE4typeEPT_PT0_S4_, .Lfunc_end190-_Z33head_segmented_warp_reduce_kernelIihLj32ELj1EENSt9enable_ifIXsr10test_utilsE35device_test_enabled_for_warp_size_vIXT2_EEEvE4typeEPT_PT0_S4_
                                        ; -- End function
	.section	.AMDGPU.csdata,"",@progbits
; Kernel info:
; codeLenInByte = 124
; NumSgprs: 18
; NumVgprs: 4
; ScratchSize: 0
; MemoryBound: 0
; FloatMode: 240
; IeeeMode: 1
; LDSByteSize: 0 bytes/workgroup (compile time only)
; SGPRBlocks: 2
; VGPRBlocks: 0
; NumSGPRsForWavesPerEU: 18
; NumVGPRsForWavesPerEU: 4
; Occupancy: 16
; WaveLimiterHint : 0
; COMPUTE_PGM_RSRC2:SCRATCH_EN: 0
; COMPUTE_PGM_RSRC2:USER_SGPR: 15
; COMPUTE_PGM_RSRC2:TRAP_HANDLER: 0
; COMPUTE_PGM_RSRC2:TGID_X_EN: 1
; COMPUTE_PGM_RSRC2:TGID_Y_EN: 0
; COMPUTE_PGM_RSRC2:TGID_Z_EN: 0
; COMPUTE_PGM_RSRC2:TIDIG_COMP_CNT: 0
	.section	.text._Z33head_segmented_warp_reduce_kernelIihLj64ELj1EENSt9enable_ifIXsr10test_utilsE35device_test_enabled_for_warp_size_vIXT2_EEEvE4typeEPT_PT0_S4_,"axG",@progbits,_Z33head_segmented_warp_reduce_kernelIihLj64ELj1EENSt9enable_ifIXsr10test_utilsE35device_test_enabled_for_warp_size_vIXT2_EEEvE4typeEPT_PT0_S4_,comdat
	.protected	_Z33head_segmented_warp_reduce_kernelIihLj64ELj1EENSt9enable_ifIXsr10test_utilsE35device_test_enabled_for_warp_size_vIXT2_EEEvE4typeEPT_PT0_S4_ ; -- Begin function _Z33head_segmented_warp_reduce_kernelIihLj64ELj1EENSt9enable_ifIXsr10test_utilsE35device_test_enabled_for_warp_size_vIXT2_EEEvE4typeEPT_PT0_S4_
	.globl	_Z33head_segmented_warp_reduce_kernelIihLj64ELj1EENSt9enable_ifIXsr10test_utilsE35device_test_enabled_for_warp_size_vIXT2_EEEvE4typeEPT_PT0_S4_
	.p2align	8
	.type	_Z33head_segmented_warp_reduce_kernelIihLj64ELj1EENSt9enable_ifIXsr10test_utilsE35device_test_enabled_for_warp_size_vIXT2_EEEvE4typeEPT_PT0_S4_,@function
_Z33head_segmented_warp_reduce_kernelIihLj64ELj1EENSt9enable_ifIXsr10test_utilsE35device_test_enabled_for_warp_size_vIXT2_EEEvE4typeEPT_PT0_S4_: ; @_Z33head_segmented_warp_reduce_kernelIihLj64ELj1EENSt9enable_ifIXsr10test_utilsE35device_test_enabled_for_warp_size_vIXT2_EEEvE4typeEPT_PT0_S4_
; %bb.0:
	s_clause 0x2
	s_load_b32 s4, s[0:1], 0x24
	s_load_b64 s[2:3], s[0:1], 0x0
	s_load_b64 s[0:1], s[0:1], 0x10
	s_waitcnt lgkmcnt(0)
	s_and_b32 s4, s4, 0xffff
	s_delay_alu instid0(SALU_CYCLE_1) | instskip(SKIP_1) | instid1(VALU_DEP_1)
	v_mad_u64_u32 v[1:2], null, s15, s4, v[0:1]
	v_mov_b32_e32 v2, 0
	v_lshlrev_b64 v[0:1], 2, v[1:2]
	s_delay_alu instid0(VALU_DEP_1) | instskip(NEXT) | instid1(VALU_DEP_2)
	v_add_co_u32 v2, vcc_lo, s2, v0
	v_add_co_ci_u32_e32 v3, vcc_lo, s3, v1, vcc_lo
	v_add_co_u32 v0, vcc_lo, s0, v0
	v_add_co_ci_u32_e32 v1, vcc_lo, s1, v1, vcc_lo
	global_load_b32 v2, v[2:3], off
	s_waitcnt vmcnt(0)
	global_store_b32 v[0:1], v2, off
	s_nop 0
	s_sendmsg sendmsg(MSG_DEALLOC_VGPRS)
	s_endpgm
	.section	.rodata,"a",@progbits
	.p2align	6, 0x0
	.amdhsa_kernel _Z33head_segmented_warp_reduce_kernelIihLj64ELj1EENSt9enable_ifIXsr10test_utilsE35device_test_enabled_for_warp_size_vIXT2_EEEvE4typeEPT_PT0_S4_
		.amdhsa_group_segment_fixed_size 0
		.amdhsa_private_segment_fixed_size 0
		.amdhsa_kernarg_size 280
		.amdhsa_user_sgpr_count 15
		.amdhsa_user_sgpr_dispatch_ptr 0
		.amdhsa_user_sgpr_queue_ptr 0
		.amdhsa_user_sgpr_kernarg_segment_ptr 1
		.amdhsa_user_sgpr_dispatch_id 0
		.amdhsa_user_sgpr_private_segment_size 0
		.amdhsa_wavefront_size32 1
		.amdhsa_uses_dynamic_stack 0
		.amdhsa_enable_private_segment 0
		.amdhsa_system_sgpr_workgroup_id_x 1
		.amdhsa_system_sgpr_workgroup_id_y 0
		.amdhsa_system_sgpr_workgroup_id_z 0
		.amdhsa_system_sgpr_workgroup_info 0
		.amdhsa_system_vgpr_workitem_id 0
		.amdhsa_next_free_vgpr 4
		.amdhsa_next_free_sgpr 16
		.amdhsa_reserve_vcc 1
		.amdhsa_float_round_mode_32 0
		.amdhsa_float_round_mode_16_64 0
		.amdhsa_float_denorm_mode_32 3
		.amdhsa_float_denorm_mode_16_64 3
		.amdhsa_dx10_clamp 1
		.amdhsa_ieee_mode 1
		.amdhsa_fp16_overflow 0
		.amdhsa_workgroup_processor_mode 1
		.amdhsa_memory_ordered 1
		.amdhsa_forward_progress 0
		.amdhsa_shared_vgpr_count 0
		.amdhsa_exception_fp_ieee_invalid_op 0
		.amdhsa_exception_fp_denorm_src 0
		.amdhsa_exception_fp_ieee_div_zero 0
		.amdhsa_exception_fp_ieee_overflow 0
		.amdhsa_exception_fp_ieee_underflow 0
		.amdhsa_exception_fp_ieee_inexact 0
		.amdhsa_exception_int_div_zero 0
	.end_amdhsa_kernel
	.section	.text._Z33head_segmented_warp_reduce_kernelIihLj64ELj1EENSt9enable_ifIXsr10test_utilsE35device_test_enabled_for_warp_size_vIXT2_EEEvE4typeEPT_PT0_S4_,"axG",@progbits,_Z33head_segmented_warp_reduce_kernelIihLj64ELj1EENSt9enable_ifIXsr10test_utilsE35device_test_enabled_for_warp_size_vIXT2_EEEvE4typeEPT_PT0_S4_,comdat
.Lfunc_end191:
	.size	_Z33head_segmented_warp_reduce_kernelIihLj64ELj1EENSt9enable_ifIXsr10test_utilsE35device_test_enabled_for_warp_size_vIXT2_EEEvE4typeEPT_PT0_S4_, .Lfunc_end191-_Z33head_segmented_warp_reduce_kernelIihLj64ELj1EENSt9enable_ifIXsr10test_utilsE35device_test_enabled_for_warp_size_vIXT2_EEEvE4typeEPT_PT0_S4_
                                        ; -- End function
	.section	.AMDGPU.csdata,"",@progbits
; Kernel info:
; codeLenInByte = 124
; NumSgprs: 18
; NumVgprs: 4
; ScratchSize: 0
; MemoryBound: 0
; FloatMode: 240
; IeeeMode: 1
; LDSByteSize: 0 bytes/workgroup (compile time only)
; SGPRBlocks: 2
; VGPRBlocks: 0
; NumSGPRsForWavesPerEU: 18
; NumVGPRsForWavesPerEU: 4
; Occupancy: 16
; WaveLimiterHint : 0
; COMPUTE_PGM_RSRC2:SCRATCH_EN: 0
; COMPUTE_PGM_RSRC2:USER_SGPR: 15
; COMPUTE_PGM_RSRC2:TRAP_HANDLER: 0
; COMPUTE_PGM_RSRC2:TGID_X_EN: 1
; COMPUTE_PGM_RSRC2:TGID_Y_EN: 0
; COMPUTE_PGM_RSRC2:TGID_Z_EN: 0
; COMPUTE_PGM_RSRC2:TIDIG_COMP_CNT: 0
	.section	.text._Z33tail_segmented_warp_reduce_kernelIfhLj1ELj61EENSt9enable_ifIXntsr10test_utilsE35device_test_enabled_for_warp_size_vIXT2_EEEvE4typeEPT_PT0_S4_,"axG",@progbits,_Z33tail_segmented_warp_reduce_kernelIfhLj1ELj61EENSt9enable_ifIXntsr10test_utilsE35device_test_enabled_for_warp_size_vIXT2_EEEvE4typeEPT_PT0_S4_,comdat
	.protected	_Z33tail_segmented_warp_reduce_kernelIfhLj1ELj61EENSt9enable_ifIXntsr10test_utilsE35device_test_enabled_for_warp_size_vIXT2_EEEvE4typeEPT_PT0_S4_ ; -- Begin function _Z33tail_segmented_warp_reduce_kernelIfhLj1ELj61EENSt9enable_ifIXntsr10test_utilsE35device_test_enabled_for_warp_size_vIXT2_EEEvE4typeEPT_PT0_S4_
	.globl	_Z33tail_segmented_warp_reduce_kernelIfhLj1ELj61EENSt9enable_ifIXntsr10test_utilsE35device_test_enabled_for_warp_size_vIXT2_EEEvE4typeEPT_PT0_S4_
	.p2align	8
	.type	_Z33tail_segmented_warp_reduce_kernelIfhLj1ELj61EENSt9enable_ifIXntsr10test_utilsE35device_test_enabled_for_warp_size_vIXT2_EEEvE4typeEPT_PT0_S4_,@function
_Z33tail_segmented_warp_reduce_kernelIfhLj1ELj61EENSt9enable_ifIXntsr10test_utilsE35device_test_enabled_for_warp_size_vIXT2_EEEvE4typeEPT_PT0_S4_: ; @_Z33tail_segmented_warp_reduce_kernelIfhLj1ELj61EENSt9enable_ifIXntsr10test_utilsE35device_test_enabled_for_warp_size_vIXT2_EEEvE4typeEPT_PT0_S4_
; %bb.0:
	s_endpgm
	.section	.rodata,"a",@progbits
	.p2align	6, 0x0
	.amdhsa_kernel _Z33tail_segmented_warp_reduce_kernelIfhLj1ELj61EENSt9enable_ifIXntsr10test_utilsE35device_test_enabled_for_warp_size_vIXT2_EEEvE4typeEPT_PT0_S4_
		.amdhsa_group_segment_fixed_size 0
		.amdhsa_private_segment_fixed_size 0
		.amdhsa_kernarg_size 24
		.amdhsa_user_sgpr_count 15
		.amdhsa_user_sgpr_dispatch_ptr 0
		.amdhsa_user_sgpr_queue_ptr 0
		.amdhsa_user_sgpr_kernarg_segment_ptr 1
		.amdhsa_user_sgpr_dispatch_id 0
		.amdhsa_user_sgpr_private_segment_size 0
		.amdhsa_wavefront_size32 1
		.amdhsa_uses_dynamic_stack 0
		.amdhsa_enable_private_segment 0
		.amdhsa_system_sgpr_workgroup_id_x 1
		.amdhsa_system_sgpr_workgroup_id_y 0
		.amdhsa_system_sgpr_workgroup_id_z 0
		.amdhsa_system_sgpr_workgroup_info 0
		.amdhsa_system_vgpr_workitem_id 0
		.amdhsa_next_free_vgpr 1
		.amdhsa_next_free_sgpr 1
		.amdhsa_reserve_vcc 0
		.amdhsa_float_round_mode_32 0
		.amdhsa_float_round_mode_16_64 0
		.amdhsa_float_denorm_mode_32 3
		.amdhsa_float_denorm_mode_16_64 3
		.amdhsa_dx10_clamp 1
		.amdhsa_ieee_mode 1
		.amdhsa_fp16_overflow 0
		.amdhsa_workgroup_processor_mode 1
		.amdhsa_memory_ordered 1
		.amdhsa_forward_progress 0
		.amdhsa_shared_vgpr_count 0
		.amdhsa_exception_fp_ieee_invalid_op 0
		.amdhsa_exception_fp_denorm_src 0
		.amdhsa_exception_fp_ieee_div_zero 0
		.amdhsa_exception_fp_ieee_overflow 0
		.amdhsa_exception_fp_ieee_underflow 0
		.amdhsa_exception_fp_ieee_inexact 0
		.amdhsa_exception_int_div_zero 0
	.end_amdhsa_kernel
	.section	.text._Z33tail_segmented_warp_reduce_kernelIfhLj1ELj61EENSt9enable_ifIXntsr10test_utilsE35device_test_enabled_for_warp_size_vIXT2_EEEvE4typeEPT_PT0_S4_,"axG",@progbits,_Z33tail_segmented_warp_reduce_kernelIfhLj1ELj61EENSt9enable_ifIXntsr10test_utilsE35device_test_enabled_for_warp_size_vIXT2_EEEvE4typeEPT_PT0_S4_,comdat
.Lfunc_end192:
	.size	_Z33tail_segmented_warp_reduce_kernelIfhLj1ELj61EENSt9enable_ifIXntsr10test_utilsE35device_test_enabled_for_warp_size_vIXT2_EEEvE4typeEPT_PT0_S4_, .Lfunc_end192-_Z33tail_segmented_warp_reduce_kernelIfhLj1ELj61EENSt9enable_ifIXntsr10test_utilsE35device_test_enabled_for_warp_size_vIXT2_EEEvE4typeEPT_PT0_S4_
                                        ; -- End function
	.section	.AMDGPU.csdata,"",@progbits
; Kernel info:
; codeLenInByte = 4
; NumSgprs: 0
; NumVgprs: 0
; ScratchSize: 0
; MemoryBound: 0
; FloatMode: 240
; IeeeMode: 1
; LDSByteSize: 0 bytes/workgroup (compile time only)
; SGPRBlocks: 0
; VGPRBlocks: 0
; NumSGPRsForWavesPerEU: 1
; NumVGPRsForWavesPerEU: 1
; Occupancy: 16
; WaveLimiterHint : 0
; COMPUTE_PGM_RSRC2:SCRATCH_EN: 0
; COMPUTE_PGM_RSRC2:USER_SGPR: 15
; COMPUTE_PGM_RSRC2:TRAP_HANDLER: 0
; COMPUTE_PGM_RSRC2:TGID_X_EN: 1
; COMPUTE_PGM_RSRC2:TGID_Y_EN: 0
; COMPUTE_PGM_RSRC2:TGID_Z_EN: 0
; COMPUTE_PGM_RSRC2:TIDIG_COMP_CNT: 0
	.section	.text._Z33tail_segmented_warp_reduce_kernelIfhLj61ELj61EENSt9enable_ifIXntsr10test_utilsE35device_test_enabled_for_warp_size_vIXT2_EEEvE4typeEPT_PT0_S4_,"axG",@progbits,_Z33tail_segmented_warp_reduce_kernelIfhLj61ELj61EENSt9enable_ifIXntsr10test_utilsE35device_test_enabled_for_warp_size_vIXT2_EEEvE4typeEPT_PT0_S4_,comdat
	.protected	_Z33tail_segmented_warp_reduce_kernelIfhLj61ELj61EENSt9enable_ifIXntsr10test_utilsE35device_test_enabled_for_warp_size_vIXT2_EEEvE4typeEPT_PT0_S4_ ; -- Begin function _Z33tail_segmented_warp_reduce_kernelIfhLj61ELj61EENSt9enable_ifIXntsr10test_utilsE35device_test_enabled_for_warp_size_vIXT2_EEEvE4typeEPT_PT0_S4_
	.globl	_Z33tail_segmented_warp_reduce_kernelIfhLj61ELj61EENSt9enable_ifIXntsr10test_utilsE35device_test_enabled_for_warp_size_vIXT2_EEEvE4typeEPT_PT0_S4_
	.p2align	8
	.type	_Z33tail_segmented_warp_reduce_kernelIfhLj61ELj61EENSt9enable_ifIXntsr10test_utilsE35device_test_enabled_for_warp_size_vIXT2_EEEvE4typeEPT_PT0_S4_,@function
_Z33tail_segmented_warp_reduce_kernelIfhLj61ELj61EENSt9enable_ifIXntsr10test_utilsE35device_test_enabled_for_warp_size_vIXT2_EEEvE4typeEPT_PT0_S4_: ; @_Z33tail_segmented_warp_reduce_kernelIfhLj61ELj61EENSt9enable_ifIXntsr10test_utilsE35device_test_enabled_for_warp_size_vIXT2_EEEvE4typeEPT_PT0_S4_
; %bb.0:
	s_endpgm
	.section	.rodata,"a",@progbits
	.p2align	6, 0x0
	.amdhsa_kernel _Z33tail_segmented_warp_reduce_kernelIfhLj61ELj61EENSt9enable_ifIXntsr10test_utilsE35device_test_enabled_for_warp_size_vIXT2_EEEvE4typeEPT_PT0_S4_
		.amdhsa_group_segment_fixed_size 0
		.amdhsa_private_segment_fixed_size 0
		.amdhsa_kernarg_size 24
		.amdhsa_user_sgpr_count 15
		.amdhsa_user_sgpr_dispatch_ptr 0
		.amdhsa_user_sgpr_queue_ptr 0
		.amdhsa_user_sgpr_kernarg_segment_ptr 1
		.amdhsa_user_sgpr_dispatch_id 0
		.amdhsa_user_sgpr_private_segment_size 0
		.amdhsa_wavefront_size32 1
		.amdhsa_uses_dynamic_stack 0
		.amdhsa_enable_private_segment 0
		.amdhsa_system_sgpr_workgroup_id_x 1
		.amdhsa_system_sgpr_workgroup_id_y 0
		.amdhsa_system_sgpr_workgroup_id_z 0
		.amdhsa_system_sgpr_workgroup_info 0
		.amdhsa_system_vgpr_workitem_id 0
		.amdhsa_next_free_vgpr 1
		.amdhsa_next_free_sgpr 1
		.amdhsa_reserve_vcc 0
		.amdhsa_float_round_mode_32 0
		.amdhsa_float_round_mode_16_64 0
		.amdhsa_float_denorm_mode_32 3
		.amdhsa_float_denorm_mode_16_64 3
		.amdhsa_dx10_clamp 1
		.amdhsa_ieee_mode 1
		.amdhsa_fp16_overflow 0
		.amdhsa_workgroup_processor_mode 1
		.amdhsa_memory_ordered 1
		.amdhsa_forward_progress 0
		.amdhsa_shared_vgpr_count 0
		.amdhsa_exception_fp_ieee_invalid_op 0
		.amdhsa_exception_fp_denorm_src 0
		.amdhsa_exception_fp_ieee_div_zero 0
		.amdhsa_exception_fp_ieee_overflow 0
		.amdhsa_exception_fp_ieee_underflow 0
		.amdhsa_exception_fp_ieee_inexact 0
		.amdhsa_exception_int_div_zero 0
	.end_amdhsa_kernel
	.section	.text._Z33tail_segmented_warp_reduce_kernelIfhLj61ELj61EENSt9enable_ifIXntsr10test_utilsE35device_test_enabled_for_warp_size_vIXT2_EEEvE4typeEPT_PT0_S4_,"axG",@progbits,_Z33tail_segmented_warp_reduce_kernelIfhLj61ELj61EENSt9enable_ifIXntsr10test_utilsE35device_test_enabled_for_warp_size_vIXT2_EEEvE4typeEPT_PT0_S4_,comdat
.Lfunc_end193:
	.size	_Z33tail_segmented_warp_reduce_kernelIfhLj61ELj61EENSt9enable_ifIXntsr10test_utilsE35device_test_enabled_for_warp_size_vIXT2_EEEvE4typeEPT_PT0_S4_, .Lfunc_end193-_Z33tail_segmented_warp_reduce_kernelIfhLj61ELj61EENSt9enable_ifIXntsr10test_utilsE35device_test_enabled_for_warp_size_vIXT2_EEEvE4typeEPT_PT0_S4_
                                        ; -- End function
	.section	.AMDGPU.csdata,"",@progbits
; Kernel info:
; codeLenInByte = 4
; NumSgprs: 0
; NumVgprs: 0
; ScratchSize: 0
; MemoryBound: 0
; FloatMode: 240
; IeeeMode: 1
; LDSByteSize: 0 bytes/workgroup (compile time only)
; SGPRBlocks: 0
; VGPRBlocks: 0
; NumSGPRsForWavesPerEU: 1
; NumVGPRsForWavesPerEU: 1
; Occupancy: 16
; WaveLimiterHint : 0
; COMPUTE_PGM_RSRC2:SCRATCH_EN: 0
; COMPUTE_PGM_RSRC2:USER_SGPR: 15
; COMPUTE_PGM_RSRC2:TRAP_HANDLER: 0
; COMPUTE_PGM_RSRC2:TGID_X_EN: 1
; COMPUTE_PGM_RSRC2:TGID_Y_EN: 0
; COMPUTE_PGM_RSRC2:TGID_Z_EN: 0
; COMPUTE_PGM_RSRC2:TIDIG_COMP_CNT: 0
	.section	.text._Z33tail_segmented_warp_reduce_kernelIfhLj1ELj37EENSt9enable_ifIXntsr10test_utilsE35device_test_enabled_for_warp_size_vIXT2_EEEvE4typeEPT_PT0_S4_,"axG",@progbits,_Z33tail_segmented_warp_reduce_kernelIfhLj1ELj37EENSt9enable_ifIXntsr10test_utilsE35device_test_enabled_for_warp_size_vIXT2_EEEvE4typeEPT_PT0_S4_,comdat
	.protected	_Z33tail_segmented_warp_reduce_kernelIfhLj1ELj37EENSt9enable_ifIXntsr10test_utilsE35device_test_enabled_for_warp_size_vIXT2_EEEvE4typeEPT_PT0_S4_ ; -- Begin function _Z33tail_segmented_warp_reduce_kernelIfhLj1ELj37EENSt9enable_ifIXntsr10test_utilsE35device_test_enabled_for_warp_size_vIXT2_EEEvE4typeEPT_PT0_S4_
	.globl	_Z33tail_segmented_warp_reduce_kernelIfhLj1ELj37EENSt9enable_ifIXntsr10test_utilsE35device_test_enabled_for_warp_size_vIXT2_EEEvE4typeEPT_PT0_S4_
	.p2align	8
	.type	_Z33tail_segmented_warp_reduce_kernelIfhLj1ELj37EENSt9enable_ifIXntsr10test_utilsE35device_test_enabled_for_warp_size_vIXT2_EEEvE4typeEPT_PT0_S4_,@function
_Z33tail_segmented_warp_reduce_kernelIfhLj1ELj37EENSt9enable_ifIXntsr10test_utilsE35device_test_enabled_for_warp_size_vIXT2_EEEvE4typeEPT_PT0_S4_: ; @_Z33tail_segmented_warp_reduce_kernelIfhLj1ELj37EENSt9enable_ifIXntsr10test_utilsE35device_test_enabled_for_warp_size_vIXT2_EEEvE4typeEPT_PT0_S4_
; %bb.0:
	s_endpgm
	.section	.rodata,"a",@progbits
	.p2align	6, 0x0
	.amdhsa_kernel _Z33tail_segmented_warp_reduce_kernelIfhLj1ELj37EENSt9enable_ifIXntsr10test_utilsE35device_test_enabled_for_warp_size_vIXT2_EEEvE4typeEPT_PT0_S4_
		.amdhsa_group_segment_fixed_size 0
		.amdhsa_private_segment_fixed_size 0
		.amdhsa_kernarg_size 24
		.amdhsa_user_sgpr_count 15
		.amdhsa_user_sgpr_dispatch_ptr 0
		.amdhsa_user_sgpr_queue_ptr 0
		.amdhsa_user_sgpr_kernarg_segment_ptr 1
		.amdhsa_user_sgpr_dispatch_id 0
		.amdhsa_user_sgpr_private_segment_size 0
		.amdhsa_wavefront_size32 1
		.amdhsa_uses_dynamic_stack 0
		.amdhsa_enable_private_segment 0
		.amdhsa_system_sgpr_workgroup_id_x 1
		.amdhsa_system_sgpr_workgroup_id_y 0
		.amdhsa_system_sgpr_workgroup_id_z 0
		.amdhsa_system_sgpr_workgroup_info 0
		.amdhsa_system_vgpr_workitem_id 0
		.amdhsa_next_free_vgpr 1
		.amdhsa_next_free_sgpr 1
		.amdhsa_reserve_vcc 0
		.amdhsa_float_round_mode_32 0
		.amdhsa_float_round_mode_16_64 0
		.amdhsa_float_denorm_mode_32 3
		.amdhsa_float_denorm_mode_16_64 3
		.amdhsa_dx10_clamp 1
		.amdhsa_ieee_mode 1
		.amdhsa_fp16_overflow 0
		.amdhsa_workgroup_processor_mode 1
		.amdhsa_memory_ordered 1
		.amdhsa_forward_progress 0
		.amdhsa_shared_vgpr_count 0
		.amdhsa_exception_fp_ieee_invalid_op 0
		.amdhsa_exception_fp_denorm_src 0
		.amdhsa_exception_fp_ieee_div_zero 0
		.amdhsa_exception_fp_ieee_overflow 0
		.amdhsa_exception_fp_ieee_underflow 0
		.amdhsa_exception_fp_ieee_inexact 0
		.amdhsa_exception_int_div_zero 0
	.end_amdhsa_kernel
	.section	.text._Z33tail_segmented_warp_reduce_kernelIfhLj1ELj37EENSt9enable_ifIXntsr10test_utilsE35device_test_enabled_for_warp_size_vIXT2_EEEvE4typeEPT_PT0_S4_,"axG",@progbits,_Z33tail_segmented_warp_reduce_kernelIfhLj1ELj37EENSt9enable_ifIXntsr10test_utilsE35device_test_enabled_for_warp_size_vIXT2_EEEvE4typeEPT_PT0_S4_,comdat
.Lfunc_end194:
	.size	_Z33tail_segmented_warp_reduce_kernelIfhLj1ELj37EENSt9enable_ifIXntsr10test_utilsE35device_test_enabled_for_warp_size_vIXT2_EEEvE4typeEPT_PT0_S4_, .Lfunc_end194-_Z33tail_segmented_warp_reduce_kernelIfhLj1ELj37EENSt9enable_ifIXntsr10test_utilsE35device_test_enabled_for_warp_size_vIXT2_EEEvE4typeEPT_PT0_S4_
                                        ; -- End function
	.section	.AMDGPU.csdata,"",@progbits
; Kernel info:
; codeLenInByte = 4
; NumSgprs: 0
; NumVgprs: 0
; ScratchSize: 0
; MemoryBound: 0
; FloatMode: 240
; IeeeMode: 1
; LDSByteSize: 0 bytes/workgroup (compile time only)
; SGPRBlocks: 0
; VGPRBlocks: 0
; NumSGPRsForWavesPerEU: 1
; NumVGPRsForWavesPerEU: 1
; Occupancy: 16
; WaveLimiterHint : 0
; COMPUTE_PGM_RSRC2:SCRATCH_EN: 0
; COMPUTE_PGM_RSRC2:USER_SGPR: 15
; COMPUTE_PGM_RSRC2:TRAP_HANDLER: 0
; COMPUTE_PGM_RSRC2:TGID_X_EN: 1
; COMPUTE_PGM_RSRC2:TGID_Y_EN: 0
; COMPUTE_PGM_RSRC2:TGID_Z_EN: 0
; COMPUTE_PGM_RSRC2:TIDIG_COMP_CNT: 0
	.section	.text._Z33tail_segmented_warp_reduce_kernelIfhLj37ELj37EENSt9enable_ifIXntsr10test_utilsE35device_test_enabled_for_warp_size_vIXT2_EEEvE4typeEPT_PT0_S4_,"axG",@progbits,_Z33tail_segmented_warp_reduce_kernelIfhLj37ELj37EENSt9enable_ifIXntsr10test_utilsE35device_test_enabled_for_warp_size_vIXT2_EEEvE4typeEPT_PT0_S4_,comdat
	.protected	_Z33tail_segmented_warp_reduce_kernelIfhLj37ELj37EENSt9enable_ifIXntsr10test_utilsE35device_test_enabled_for_warp_size_vIXT2_EEEvE4typeEPT_PT0_S4_ ; -- Begin function _Z33tail_segmented_warp_reduce_kernelIfhLj37ELj37EENSt9enable_ifIXntsr10test_utilsE35device_test_enabled_for_warp_size_vIXT2_EEEvE4typeEPT_PT0_S4_
	.globl	_Z33tail_segmented_warp_reduce_kernelIfhLj37ELj37EENSt9enable_ifIXntsr10test_utilsE35device_test_enabled_for_warp_size_vIXT2_EEEvE4typeEPT_PT0_S4_
	.p2align	8
	.type	_Z33tail_segmented_warp_reduce_kernelIfhLj37ELj37EENSt9enable_ifIXntsr10test_utilsE35device_test_enabled_for_warp_size_vIXT2_EEEvE4typeEPT_PT0_S4_,@function
_Z33tail_segmented_warp_reduce_kernelIfhLj37ELj37EENSt9enable_ifIXntsr10test_utilsE35device_test_enabled_for_warp_size_vIXT2_EEEvE4typeEPT_PT0_S4_: ; @_Z33tail_segmented_warp_reduce_kernelIfhLj37ELj37EENSt9enable_ifIXntsr10test_utilsE35device_test_enabled_for_warp_size_vIXT2_EEEvE4typeEPT_PT0_S4_
; %bb.0:
	s_endpgm
	.section	.rodata,"a",@progbits
	.p2align	6, 0x0
	.amdhsa_kernel _Z33tail_segmented_warp_reduce_kernelIfhLj37ELj37EENSt9enable_ifIXntsr10test_utilsE35device_test_enabled_for_warp_size_vIXT2_EEEvE4typeEPT_PT0_S4_
		.amdhsa_group_segment_fixed_size 0
		.amdhsa_private_segment_fixed_size 0
		.amdhsa_kernarg_size 24
		.amdhsa_user_sgpr_count 15
		.amdhsa_user_sgpr_dispatch_ptr 0
		.amdhsa_user_sgpr_queue_ptr 0
		.amdhsa_user_sgpr_kernarg_segment_ptr 1
		.amdhsa_user_sgpr_dispatch_id 0
		.amdhsa_user_sgpr_private_segment_size 0
		.amdhsa_wavefront_size32 1
		.amdhsa_uses_dynamic_stack 0
		.amdhsa_enable_private_segment 0
		.amdhsa_system_sgpr_workgroup_id_x 1
		.amdhsa_system_sgpr_workgroup_id_y 0
		.amdhsa_system_sgpr_workgroup_id_z 0
		.amdhsa_system_sgpr_workgroup_info 0
		.amdhsa_system_vgpr_workitem_id 0
		.amdhsa_next_free_vgpr 1
		.amdhsa_next_free_sgpr 1
		.amdhsa_reserve_vcc 0
		.amdhsa_float_round_mode_32 0
		.amdhsa_float_round_mode_16_64 0
		.amdhsa_float_denorm_mode_32 3
		.amdhsa_float_denorm_mode_16_64 3
		.amdhsa_dx10_clamp 1
		.amdhsa_ieee_mode 1
		.amdhsa_fp16_overflow 0
		.amdhsa_workgroup_processor_mode 1
		.amdhsa_memory_ordered 1
		.amdhsa_forward_progress 0
		.amdhsa_shared_vgpr_count 0
		.amdhsa_exception_fp_ieee_invalid_op 0
		.amdhsa_exception_fp_denorm_src 0
		.amdhsa_exception_fp_ieee_div_zero 0
		.amdhsa_exception_fp_ieee_overflow 0
		.amdhsa_exception_fp_ieee_underflow 0
		.amdhsa_exception_fp_ieee_inexact 0
		.amdhsa_exception_int_div_zero 0
	.end_amdhsa_kernel
	.section	.text._Z33tail_segmented_warp_reduce_kernelIfhLj37ELj37EENSt9enable_ifIXntsr10test_utilsE35device_test_enabled_for_warp_size_vIXT2_EEEvE4typeEPT_PT0_S4_,"axG",@progbits,_Z33tail_segmented_warp_reduce_kernelIfhLj37ELj37EENSt9enable_ifIXntsr10test_utilsE35device_test_enabled_for_warp_size_vIXT2_EEEvE4typeEPT_PT0_S4_,comdat
.Lfunc_end195:
	.size	_Z33tail_segmented_warp_reduce_kernelIfhLj37ELj37EENSt9enable_ifIXntsr10test_utilsE35device_test_enabled_for_warp_size_vIXT2_EEEvE4typeEPT_PT0_S4_, .Lfunc_end195-_Z33tail_segmented_warp_reduce_kernelIfhLj37ELj37EENSt9enable_ifIXntsr10test_utilsE35device_test_enabled_for_warp_size_vIXT2_EEEvE4typeEPT_PT0_S4_
                                        ; -- End function
	.section	.AMDGPU.csdata,"",@progbits
; Kernel info:
; codeLenInByte = 4
; NumSgprs: 0
; NumVgprs: 0
; ScratchSize: 0
; MemoryBound: 0
; FloatMode: 240
; IeeeMode: 1
; LDSByteSize: 0 bytes/workgroup (compile time only)
; SGPRBlocks: 0
; VGPRBlocks: 0
; NumSGPRsForWavesPerEU: 1
; NumVGPRsForWavesPerEU: 1
; Occupancy: 16
; WaveLimiterHint : 0
; COMPUTE_PGM_RSRC2:SCRATCH_EN: 0
; COMPUTE_PGM_RSRC2:USER_SGPR: 15
; COMPUTE_PGM_RSRC2:TRAP_HANDLER: 0
; COMPUTE_PGM_RSRC2:TGID_X_EN: 1
; COMPUTE_PGM_RSRC2:TGID_Y_EN: 0
; COMPUTE_PGM_RSRC2:TGID_Z_EN: 0
; COMPUTE_PGM_RSRC2:TIDIG_COMP_CNT: 0
	.section	.text._Z33tail_segmented_warp_reduce_kernelIfhLj30ELj15EENSt9enable_ifIXsr10test_utilsE35device_test_enabled_for_warp_size_vIXT2_EEEvE4typeEPT_PT0_S4_,"axG",@progbits,_Z33tail_segmented_warp_reduce_kernelIfhLj30ELj15EENSt9enable_ifIXsr10test_utilsE35device_test_enabled_for_warp_size_vIXT2_EEEvE4typeEPT_PT0_S4_,comdat
	.protected	_Z33tail_segmented_warp_reduce_kernelIfhLj30ELj15EENSt9enable_ifIXsr10test_utilsE35device_test_enabled_for_warp_size_vIXT2_EEEvE4typeEPT_PT0_S4_ ; -- Begin function _Z33tail_segmented_warp_reduce_kernelIfhLj30ELj15EENSt9enable_ifIXsr10test_utilsE35device_test_enabled_for_warp_size_vIXT2_EEEvE4typeEPT_PT0_S4_
	.globl	_Z33tail_segmented_warp_reduce_kernelIfhLj30ELj15EENSt9enable_ifIXsr10test_utilsE35device_test_enabled_for_warp_size_vIXT2_EEEvE4typeEPT_PT0_S4_
	.p2align	8
	.type	_Z33tail_segmented_warp_reduce_kernelIfhLj30ELj15EENSt9enable_ifIXsr10test_utilsE35device_test_enabled_for_warp_size_vIXT2_EEEvE4typeEPT_PT0_S4_,@function
_Z33tail_segmented_warp_reduce_kernelIfhLj30ELj15EENSt9enable_ifIXsr10test_utilsE35device_test_enabled_for_warp_size_vIXT2_EEEvE4typeEPT_PT0_S4_: ; @_Z33tail_segmented_warp_reduce_kernelIfhLj30ELj15EENSt9enable_ifIXsr10test_utilsE35device_test_enabled_for_warp_size_vIXT2_EEEvE4typeEPT_PT0_S4_
; %bb.0:
	s_clause 0x1
	s_load_b32 s2, s[0:1], 0x24
	s_load_b128 s[4:7], s[0:1], 0x0
	s_waitcnt lgkmcnt(0)
	s_and_b32 s2, s2, 0xffff
	s_delay_alu instid0(SALU_CYCLE_1) | instskip(SKIP_3) | instid1(VALU_DEP_1)
	v_mad_u64_u32 v[1:2], null, s15, s2, v[0:1]
	v_mov_b32_e32 v2, 0
	v_mul_u32_u24_e32 v0, 0x1112, v0
	s_mov_b32 s2, exec_lo
	v_lshrrev_b32_e32 v0, 16, v0
	global_load_u8 v5, v1, s[6:7]
	v_lshlrev_b64 v[1:2], 2, v[1:2]
	s_delay_alu instid0(VALU_DEP_1) | instskip(NEXT) | instid1(VALU_DEP_2)
	v_add_co_u32 v3, vcc_lo, s4, v1
	v_add_co_ci_u32_e32 v4, vcc_lo, s5, v2, vcc_lo
	global_load_b32 v3, v[3:4], off
	v_mbcnt_lo_u32_b32 v4, -1, 0
	s_delay_alu instid0(VALU_DEP_1) | instskip(NEXT) | instid1(VALU_DEP_1)
	v_mul_hi_u32 v6, 0x11111112, v4
	v_mul_u32_u24_e32 v6, 15, v6
	s_waitcnt vmcnt(1)
	v_cmp_ne_u16_e32 vcc_lo, 0, v5
	v_lshlrev_b32_e64 v5, v4, -1
	s_delay_alu instid0(VALU_DEP_3) | instskip(NEXT) | instid1(VALU_DEP_2)
	v_sub_nc_u32_e32 v4, v4, v6
	v_and_b32_e32 v5, vcc_lo, v5
	s_delay_alu instid0(VALU_DEP_1) | instskip(NEXT) | instid1(VALU_DEP_3)
	v_lshrrev_b32_e32 v5, v6, v5
	v_lshlrev_b32_e32 v6, 2, v4
	s_delay_alu instid0(VALU_DEP_2) | instskip(NEXT) | instid1(VALU_DEP_2)
	v_or_b32_e32 v5, 0x4000, v5
	v_mad_u32_u24 v0, v0, 60, v6
	s_delay_alu instid0(VALU_DEP_2)
	v_ctz_i32_b32_e32 v5, v5
	s_waitcnt vmcnt(0)
	ds_store_b32 v0, v3
	; wave barrier
	v_cmpx_lt_u32_e64 v4, v5
	s_cbranch_execz .LBB196_2
; %bb.1:
	ds_load_b32 v6, v0 offset:4
	s_waitcnt lgkmcnt(0)
	v_add_f32_e32 v3, v3, v6
.LBB196_2:
	s_or_b32 exec_lo, exec_lo, s2
	s_load_b64 s[0:1], s[0:1], 0x10
	v_add_nc_u32_e32 v6, 2, v4
	s_mov_b32 s2, exec_lo
	; wave barrier
	ds_store_b32 v0, v3
	; wave barrier
	v_cmpx_le_u32_e64 v6, v5
	s_cbranch_execz .LBB196_4
; %bb.3:
	ds_load_b32 v6, v0 offset:8
	s_waitcnt lgkmcnt(0)
	v_add_f32_e32 v3, v3, v6
.LBB196_4:
	s_or_b32 exec_lo, exec_lo, s2
	v_add_nc_u32_e32 v6, 4, v4
	s_mov_b32 s2, exec_lo
	; wave barrier
	ds_store_b32 v0, v3
	; wave barrier
	v_cmpx_le_u32_e64 v6, v5
	s_cbranch_execz .LBB196_6
; %bb.5:
	ds_load_b32 v6, v0 offset:16
	s_waitcnt lgkmcnt(0)
	v_add_f32_e32 v3, v3, v6
.LBB196_6:
	s_or_b32 exec_lo, exec_lo, s2
	v_add_nc_u32_e32 v4, 8, v4
	s_mov_b32 s2, exec_lo
	; wave barrier
	ds_store_b32 v0, v3
	; wave barrier
	v_cmpx_le_u32_e64 v4, v5
	s_cbranch_execz .LBB196_8
; %bb.7:
	ds_load_b32 v0, v0 offset:32
	s_waitcnt lgkmcnt(0)
	v_add_f32_e32 v3, v3, v0
.LBB196_8:
	s_or_b32 exec_lo, exec_lo, s2
	s_waitcnt lgkmcnt(0)
	v_add_co_u32 v0, vcc_lo, s0, v1
	v_add_co_ci_u32_e32 v1, vcc_lo, s1, v2, vcc_lo
	; wave barrier
	global_store_b32 v[0:1], v3, off
	s_nop 0
	s_sendmsg sendmsg(MSG_DEALLOC_VGPRS)
	s_endpgm
	.section	.rodata,"a",@progbits
	.p2align	6, 0x0
	.amdhsa_kernel _Z33tail_segmented_warp_reduce_kernelIfhLj30ELj15EENSt9enable_ifIXsr10test_utilsE35device_test_enabled_for_warp_size_vIXT2_EEEvE4typeEPT_PT0_S4_
		.amdhsa_group_segment_fixed_size 120
		.amdhsa_private_segment_fixed_size 0
		.amdhsa_kernarg_size 280
		.amdhsa_user_sgpr_count 15
		.amdhsa_user_sgpr_dispatch_ptr 0
		.amdhsa_user_sgpr_queue_ptr 0
		.amdhsa_user_sgpr_kernarg_segment_ptr 1
		.amdhsa_user_sgpr_dispatch_id 0
		.amdhsa_user_sgpr_private_segment_size 0
		.amdhsa_wavefront_size32 1
		.amdhsa_uses_dynamic_stack 0
		.amdhsa_enable_private_segment 0
		.amdhsa_system_sgpr_workgroup_id_x 1
		.amdhsa_system_sgpr_workgroup_id_y 0
		.amdhsa_system_sgpr_workgroup_id_z 0
		.amdhsa_system_sgpr_workgroup_info 0
		.amdhsa_system_vgpr_workitem_id 0
		.amdhsa_next_free_vgpr 7
		.amdhsa_next_free_sgpr 16
		.amdhsa_reserve_vcc 1
		.amdhsa_float_round_mode_32 0
		.amdhsa_float_round_mode_16_64 0
		.amdhsa_float_denorm_mode_32 3
		.amdhsa_float_denorm_mode_16_64 3
		.amdhsa_dx10_clamp 1
		.amdhsa_ieee_mode 1
		.amdhsa_fp16_overflow 0
		.amdhsa_workgroup_processor_mode 1
		.amdhsa_memory_ordered 1
		.amdhsa_forward_progress 0
		.amdhsa_shared_vgpr_count 0
		.amdhsa_exception_fp_ieee_invalid_op 0
		.amdhsa_exception_fp_denorm_src 0
		.amdhsa_exception_fp_ieee_div_zero 0
		.amdhsa_exception_fp_ieee_overflow 0
		.amdhsa_exception_fp_ieee_underflow 0
		.amdhsa_exception_fp_ieee_inexact 0
		.amdhsa_exception_int_div_zero 0
	.end_amdhsa_kernel
	.section	.text._Z33tail_segmented_warp_reduce_kernelIfhLj30ELj15EENSt9enable_ifIXsr10test_utilsE35device_test_enabled_for_warp_size_vIXT2_EEEvE4typeEPT_PT0_S4_,"axG",@progbits,_Z33tail_segmented_warp_reduce_kernelIfhLj30ELj15EENSt9enable_ifIXsr10test_utilsE35device_test_enabled_for_warp_size_vIXT2_EEEvE4typeEPT_PT0_S4_,comdat
.Lfunc_end196:
	.size	_Z33tail_segmented_warp_reduce_kernelIfhLj30ELj15EENSt9enable_ifIXsr10test_utilsE35device_test_enabled_for_warp_size_vIXT2_EEEvE4typeEPT_PT0_S4_, .Lfunc_end196-_Z33tail_segmented_warp_reduce_kernelIfhLj30ELj15EENSt9enable_ifIXsr10test_utilsE35device_test_enabled_for_warp_size_vIXT2_EEEvE4typeEPT_PT0_S4_
                                        ; -- End function
	.section	.AMDGPU.csdata,"",@progbits
; Kernel info:
; codeLenInByte = 432
; NumSgprs: 18
; NumVgprs: 7
; ScratchSize: 0
; MemoryBound: 0
; FloatMode: 240
; IeeeMode: 1
; LDSByteSize: 120 bytes/workgroup (compile time only)
; SGPRBlocks: 2
; VGPRBlocks: 0
; NumSGPRsForWavesPerEU: 18
; NumVGPRsForWavesPerEU: 7
; Occupancy: 16
; WaveLimiterHint : 0
; COMPUTE_PGM_RSRC2:SCRATCH_EN: 0
; COMPUTE_PGM_RSRC2:USER_SGPR: 15
; COMPUTE_PGM_RSRC2:TRAP_HANDLER: 0
; COMPUTE_PGM_RSRC2:TGID_X_EN: 1
; COMPUTE_PGM_RSRC2:TGID_Y_EN: 0
; COMPUTE_PGM_RSRC2:TGID_Z_EN: 0
; COMPUTE_PGM_RSRC2:TIDIG_COMP_CNT: 0
	.section	.text._Z33tail_segmented_warp_reduce_kernelIfhLj60ELj15EENSt9enable_ifIXsr10test_utilsE35device_test_enabled_for_warp_size_vIXT2_EEEvE4typeEPT_PT0_S4_,"axG",@progbits,_Z33tail_segmented_warp_reduce_kernelIfhLj60ELj15EENSt9enable_ifIXsr10test_utilsE35device_test_enabled_for_warp_size_vIXT2_EEEvE4typeEPT_PT0_S4_,comdat
	.protected	_Z33tail_segmented_warp_reduce_kernelIfhLj60ELj15EENSt9enable_ifIXsr10test_utilsE35device_test_enabled_for_warp_size_vIXT2_EEEvE4typeEPT_PT0_S4_ ; -- Begin function _Z33tail_segmented_warp_reduce_kernelIfhLj60ELj15EENSt9enable_ifIXsr10test_utilsE35device_test_enabled_for_warp_size_vIXT2_EEEvE4typeEPT_PT0_S4_
	.globl	_Z33tail_segmented_warp_reduce_kernelIfhLj60ELj15EENSt9enable_ifIXsr10test_utilsE35device_test_enabled_for_warp_size_vIXT2_EEEvE4typeEPT_PT0_S4_
	.p2align	8
	.type	_Z33tail_segmented_warp_reduce_kernelIfhLj60ELj15EENSt9enable_ifIXsr10test_utilsE35device_test_enabled_for_warp_size_vIXT2_EEEvE4typeEPT_PT0_S4_,@function
_Z33tail_segmented_warp_reduce_kernelIfhLj60ELj15EENSt9enable_ifIXsr10test_utilsE35device_test_enabled_for_warp_size_vIXT2_EEEvE4typeEPT_PT0_S4_: ; @_Z33tail_segmented_warp_reduce_kernelIfhLj60ELj15EENSt9enable_ifIXsr10test_utilsE35device_test_enabled_for_warp_size_vIXT2_EEEvE4typeEPT_PT0_S4_
; %bb.0:
	s_clause 0x1
	s_load_b32 s2, s[0:1], 0x24
	s_load_b128 s[4:7], s[0:1], 0x0
	s_waitcnt lgkmcnt(0)
	s_and_b32 s2, s2, 0xffff
	s_delay_alu instid0(SALU_CYCLE_1) | instskip(SKIP_3) | instid1(VALU_DEP_1)
	v_mad_u64_u32 v[1:2], null, s15, s2, v[0:1]
	v_mov_b32_e32 v2, 0
	v_mul_u32_u24_e32 v0, 0x1112, v0
	s_mov_b32 s2, exec_lo
	v_lshrrev_b32_e32 v0, 16, v0
	global_load_u8 v5, v1, s[6:7]
	v_lshlrev_b64 v[1:2], 2, v[1:2]
	s_delay_alu instid0(VALU_DEP_1) | instskip(NEXT) | instid1(VALU_DEP_2)
	v_add_co_u32 v3, vcc_lo, s4, v1
	v_add_co_ci_u32_e32 v4, vcc_lo, s5, v2, vcc_lo
	global_load_b32 v3, v[3:4], off
	v_mbcnt_lo_u32_b32 v4, -1, 0
	s_delay_alu instid0(VALU_DEP_1) | instskip(NEXT) | instid1(VALU_DEP_1)
	v_mul_hi_u32 v6, 0x11111112, v4
	v_mul_u32_u24_e32 v6, 15, v6
	s_waitcnt vmcnt(1)
	v_cmp_ne_u16_e32 vcc_lo, 0, v5
	v_lshlrev_b32_e64 v5, v4, -1
	s_delay_alu instid0(VALU_DEP_3) | instskip(NEXT) | instid1(VALU_DEP_2)
	v_sub_nc_u32_e32 v4, v4, v6
	v_and_b32_e32 v5, vcc_lo, v5
	s_delay_alu instid0(VALU_DEP_1) | instskip(NEXT) | instid1(VALU_DEP_3)
	v_lshrrev_b32_e32 v5, v6, v5
	v_lshlrev_b32_e32 v6, 2, v4
	s_delay_alu instid0(VALU_DEP_2) | instskip(NEXT) | instid1(VALU_DEP_2)
	v_or_b32_e32 v5, 0x4000, v5
	v_mad_u32_u24 v0, v0, 60, v6
	s_delay_alu instid0(VALU_DEP_2)
	v_ctz_i32_b32_e32 v5, v5
	s_waitcnt vmcnt(0)
	ds_store_b32 v0, v3
	; wave barrier
	v_cmpx_lt_u32_e64 v4, v5
	s_cbranch_execz .LBB197_2
; %bb.1:
	ds_load_b32 v6, v0 offset:4
	s_waitcnt lgkmcnt(0)
	v_add_f32_e32 v3, v3, v6
.LBB197_2:
	s_or_b32 exec_lo, exec_lo, s2
	s_load_b64 s[0:1], s[0:1], 0x10
	v_add_nc_u32_e32 v6, 2, v4
	s_mov_b32 s2, exec_lo
	; wave barrier
	ds_store_b32 v0, v3
	; wave barrier
	v_cmpx_le_u32_e64 v6, v5
	s_cbranch_execz .LBB197_4
; %bb.3:
	ds_load_b32 v6, v0 offset:8
	s_waitcnt lgkmcnt(0)
	v_add_f32_e32 v3, v3, v6
.LBB197_4:
	s_or_b32 exec_lo, exec_lo, s2
	v_add_nc_u32_e32 v6, 4, v4
	s_mov_b32 s2, exec_lo
	; wave barrier
	ds_store_b32 v0, v3
	; wave barrier
	v_cmpx_le_u32_e64 v6, v5
	s_cbranch_execz .LBB197_6
; %bb.5:
	ds_load_b32 v6, v0 offset:16
	s_waitcnt lgkmcnt(0)
	v_add_f32_e32 v3, v3, v6
.LBB197_6:
	s_or_b32 exec_lo, exec_lo, s2
	;; [unrolled: 13-line block ×3, first 2 shown]
	s_waitcnt lgkmcnt(0)
	v_add_co_u32 v0, vcc_lo, s0, v1
	v_add_co_ci_u32_e32 v1, vcc_lo, s1, v2, vcc_lo
	; wave barrier
	global_store_b32 v[0:1], v3, off
	s_nop 0
	s_sendmsg sendmsg(MSG_DEALLOC_VGPRS)
	s_endpgm
	.section	.rodata,"a",@progbits
	.p2align	6, 0x0
	.amdhsa_kernel _Z33tail_segmented_warp_reduce_kernelIfhLj60ELj15EENSt9enable_ifIXsr10test_utilsE35device_test_enabled_for_warp_size_vIXT2_EEEvE4typeEPT_PT0_S4_
		.amdhsa_group_segment_fixed_size 240
		.amdhsa_private_segment_fixed_size 0
		.amdhsa_kernarg_size 280
		.amdhsa_user_sgpr_count 15
		.amdhsa_user_sgpr_dispatch_ptr 0
		.amdhsa_user_sgpr_queue_ptr 0
		.amdhsa_user_sgpr_kernarg_segment_ptr 1
		.amdhsa_user_sgpr_dispatch_id 0
		.amdhsa_user_sgpr_private_segment_size 0
		.amdhsa_wavefront_size32 1
		.amdhsa_uses_dynamic_stack 0
		.amdhsa_enable_private_segment 0
		.amdhsa_system_sgpr_workgroup_id_x 1
		.amdhsa_system_sgpr_workgroup_id_y 0
		.amdhsa_system_sgpr_workgroup_id_z 0
		.amdhsa_system_sgpr_workgroup_info 0
		.amdhsa_system_vgpr_workitem_id 0
		.amdhsa_next_free_vgpr 7
		.amdhsa_next_free_sgpr 16
		.amdhsa_reserve_vcc 1
		.amdhsa_float_round_mode_32 0
		.amdhsa_float_round_mode_16_64 0
		.amdhsa_float_denorm_mode_32 3
		.amdhsa_float_denorm_mode_16_64 3
		.amdhsa_dx10_clamp 1
		.amdhsa_ieee_mode 1
		.amdhsa_fp16_overflow 0
		.amdhsa_workgroup_processor_mode 1
		.amdhsa_memory_ordered 1
		.amdhsa_forward_progress 0
		.amdhsa_shared_vgpr_count 0
		.amdhsa_exception_fp_ieee_invalid_op 0
		.amdhsa_exception_fp_denorm_src 0
		.amdhsa_exception_fp_ieee_div_zero 0
		.amdhsa_exception_fp_ieee_overflow 0
		.amdhsa_exception_fp_ieee_underflow 0
		.amdhsa_exception_fp_ieee_inexact 0
		.amdhsa_exception_int_div_zero 0
	.end_amdhsa_kernel
	.section	.text._Z33tail_segmented_warp_reduce_kernelIfhLj60ELj15EENSt9enable_ifIXsr10test_utilsE35device_test_enabled_for_warp_size_vIXT2_EEEvE4typeEPT_PT0_S4_,"axG",@progbits,_Z33tail_segmented_warp_reduce_kernelIfhLj60ELj15EENSt9enable_ifIXsr10test_utilsE35device_test_enabled_for_warp_size_vIXT2_EEEvE4typeEPT_PT0_S4_,comdat
.Lfunc_end197:
	.size	_Z33tail_segmented_warp_reduce_kernelIfhLj60ELj15EENSt9enable_ifIXsr10test_utilsE35device_test_enabled_for_warp_size_vIXT2_EEEvE4typeEPT_PT0_S4_, .Lfunc_end197-_Z33tail_segmented_warp_reduce_kernelIfhLj60ELj15EENSt9enable_ifIXsr10test_utilsE35device_test_enabled_for_warp_size_vIXT2_EEEvE4typeEPT_PT0_S4_
                                        ; -- End function
	.section	.AMDGPU.csdata,"",@progbits
; Kernel info:
; codeLenInByte = 432
; NumSgprs: 18
; NumVgprs: 7
; ScratchSize: 0
; MemoryBound: 0
; FloatMode: 240
; IeeeMode: 1
; LDSByteSize: 240 bytes/workgroup (compile time only)
; SGPRBlocks: 2
; VGPRBlocks: 0
; NumSGPRsForWavesPerEU: 18
; NumVGPRsForWavesPerEU: 7
; Occupancy: 16
; WaveLimiterHint : 0
; COMPUTE_PGM_RSRC2:SCRATCH_EN: 0
; COMPUTE_PGM_RSRC2:USER_SGPR: 15
; COMPUTE_PGM_RSRC2:TRAP_HANDLER: 0
; COMPUTE_PGM_RSRC2:TGID_X_EN: 1
; COMPUTE_PGM_RSRC2:TGID_Y_EN: 0
; COMPUTE_PGM_RSRC2:TGID_Z_EN: 0
; COMPUTE_PGM_RSRC2:TIDIG_COMP_CNT: 0
	.section	.text._Z33tail_segmented_warp_reduce_kernelIfhLj28ELj7EENSt9enable_ifIXsr10test_utilsE35device_test_enabled_for_warp_size_vIXT2_EEEvE4typeEPT_PT0_S4_,"axG",@progbits,_Z33tail_segmented_warp_reduce_kernelIfhLj28ELj7EENSt9enable_ifIXsr10test_utilsE35device_test_enabled_for_warp_size_vIXT2_EEEvE4typeEPT_PT0_S4_,comdat
	.protected	_Z33tail_segmented_warp_reduce_kernelIfhLj28ELj7EENSt9enable_ifIXsr10test_utilsE35device_test_enabled_for_warp_size_vIXT2_EEEvE4typeEPT_PT0_S4_ ; -- Begin function _Z33tail_segmented_warp_reduce_kernelIfhLj28ELj7EENSt9enable_ifIXsr10test_utilsE35device_test_enabled_for_warp_size_vIXT2_EEEvE4typeEPT_PT0_S4_
	.globl	_Z33tail_segmented_warp_reduce_kernelIfhLj28ELj7EENSt9enable_ifIXsr10test_utilsE35device_test_enabled_for_warp_size_vIXT2_EEEvE4typeEPT_PT0_S4_
	.p2align	8
	.type	_Z33tail_segmented_warp_reduce_kernelIfhLj28ELj7EENSt9enable_ifIXsr10test_utilsE35device_test_enabled_for_warp_size_vIXT2_EEEvE4typeEPT_PT0_S4_,@function
_Z33tail_segmented_warp_reduce_kernelIfhLj28ELj7EENSt9enable_ifIXsr10test_utilsE35device_test_enabled_for_warp_size_vIXT2_EEEvE4typeEPT_PT0_S4_: ; @_Z33tail_segmented_warp_reduce_kernelIfhLj28ELj7EENSt9enable_ifIXsr10test_utilsE35device_test_enabled_for_warp_size_vIXT2_EEEvE4typeEPT_PT0_S4_
; %bb.0:
	s_clause 0x2
	s_load_b32 s2, s[0:1], 0x24
	s_load_b128 s[4:7], s[0:1], 0x0
	s_load_b64 s[0:1], s[0:1], 0x10
	s_waitcnt lgkmcnt(0)
	s_and_b32 s2, s2, 0xffff
	s_delay_alu instid0(SALU_CYCLE_1) | instskip(SKIP_3) | instid1(VALU_DEP_1)
	v_mad_u64_u32 v[1:2], null, s15, s2, v[0:1]
	v_mov_b32_e32 v2, 0
	v_mul_u32_u24_e32 v0, 0x2493, v0
	s_mov_b32 s2, exec_lo
	v_lshrrev_b32_e32 v0, 16, v0
	global_load_u8 v5, v1, s[6:7]
	v_lshlrev_b64 v[1:2], 2, v[1:2]
	s_delay_alu instid0(VALU_DEP_1) | instskip(NEXT) | instid1(VALU_DEP_2)
	v_add_co_u32 v3, vcc_lo, s4, v1
	v_add_co_ci_u32_e32 v4, vcc_lo, s5, v2, vcc_lo
	global_load_b32 v3, v[3:4], off
	v_mbcnt_lo_u32_b32 v4, -1, 0
	s_delay_alu instid0(VALU_DEP_1) | instskip(NEXT) | instid1(VALU_DEP_1)
	v_mul_hi_u32 v6, 0x24924925, v4
	v_mul_u32_u24_e32 v6, 7, v6
	s_waitcnt vmcnt(1)
	v_cmp_ne_u16_e32 vcc_lo, 0, v5
	v_lshlrev_b32_e64 v5, v4, -1
	s_delay_alu instid0(VALU_DEP_3) | instskip(NEXT) | instid1(VALU_DEP_2)
	v_sub_nc_u32_e32 v4, v4, v6
	v_and_b32_e32 v5, vcc_lo, v5
	s_delay_alu instid0(VALU_DEP_1) | instskip(NEXT) | instid1(VALU_DEP_3)
	v_lshrrev_b32_e32 v5, v6, v5
	v_lshlrev_b32_e32 v6, 2, v4
	s_delay_alu instid0(VALU_DEP_2) | instskip(NEXT) | instid1(VALU_DEP_2)
	v_or_b32_e32 v5, 64, v5
	v_mad_u32_u24 v0, v0, 28, v6
	s_delay_alu instid0(VALU_DEP_2)
	v_ctz_i32_b32_e32 v5, v5
	s_waitcnt vmcnt(0)
	ds_store_b32 v0, v3
	; wave barrier
	v_cmpx_lt_u32_e64 v4, v5
	s_cbranch_execz .LBB198_2
; %bb.1:
	ds_load_b32 v6, v0 offset:4
	s_waitcnt lgkmcnt(0)
	v_add_f32_e32 v3, v3, v6
.LBB198_2:
	s_or_b32 exec_lo, exec_lo, s2
	v_add_nc_u32_e32 v6, 2, v4
	s_mov_b32 s2, exec_lo
	; wave barrier
	ds_store_b32 v0, v3
	; wave barrier
	v_cmpx_le_u32_e64 v6, v5
	s_cbranch_execz .LBB198_4
; %bb.3:
	ds_load_b32 v6, v0 offset:8
	s_waitcnt lgkmcnt(0)
	v_add_f32_e32 v3, v3, v6
.LBB198_4:
	s_or_b32 exec_lo, exec_lo, s2
	v_add_nc_u32_e32 v4, 4, v4
	s_mov_b32 s2, exec_lo
	; wave barrier
	ds_store_b32 v0, v3
	; wave barrier
	v_cmpx_le_u32_e64 v4, v5
	s_cbranch_execz .LBB198_6
; %bb.5:
	ds_load_b32 v0, v0 offset:16
	s_waitcnt lgkmcnt(0)
	v_add_f32_e32 v3, v3, v0
.LBB198_6:
	s_or_b32 exec_lo, exec_lo, s2
	v_add_co_u32 v0, vcc_lo, s0, v1
	v_add_co_ci_u32_e32 v1, vcc_lo, s1, v2, vcc_lo
	; wave barrier
	global_store_b32 v[0:1], v3, off
	s_nop 0
	s_sendmsg sendmsg(MSG_DEALLOC_VGPRS)
	s_endpgm
	.section	.rodata,"a",@progbits
	.p2align	6, 0x0
	.amdhsa_kernel _Z33tail_segmented_warp_reduce_kernelIfhLj28ELj7EENSt9enable_ifIXsr10test_utilsE35device_test_enabled_for_warp_size_vIXT2_EEEvE4typeEPT_PT0_S4_
		.amdhsa_group_segment_fixed_size 112
		.amdhsa_private_segment_fixed_size 0
		.amdhsa_kernarg_size 280
		.amdhsa_user_sgpr_count 15
		.amdhsa_user_sgpr_dispatch_ptr 0
		.amdhsa_user_sgpr_queue_ptr 0
		.amdhsa_user_sgpr_kernarg_segment_ptr 1
		.amdhsa_user_sgpr_dispatch_id 0
		.amdhsa_user_sgpr_private_segment_size 0
		.amdhsa_wavefront_size32 1
		.amdhsa_uses_dynamic_stack 0
		.amdhsa_enable_private_segment 0
		.amdhsa_system_sgpr_workgroup_id_x 1
		.amdhsa_system_sgpr_workgroup_id_y 0
		.amdhsa_system_sgpr_workgroup_id_z 0
		.amdhsa_system_sgpr_workgroup_info 0
		.amdhsa_system_vgpr_workitem_id 0
		.amdhsa_next_free_vgpr 7
		.amdhsa_next_free_sgpr 16
		.amdhsa_reserve_vcc 1
		.amdhsa_float_round_mode_32 0
		.amdhsa_float_round_mode_16_64 0
		.amdhsa_float_denorm_mode_32 3
		.amdhsa_float_denorm_mode_16_64 3
		.amdhsa_dx10_clamp 1
		.amdhsa_ieee_mode 1
		.amdhsa_fp16_overflow 0
		.amdhsa_workgroup_processor_mode 1
		.amdhsa_memory_ordered 1
		.amdhsa_forward_progress 0
		.amdhsa_shared_vgpr_count 0
		.amdhsa_exception_fp_ieee_invalid_op 0
		.amdhsa_exception_fp_denorm_src 0
		.amdhsa_exception_fp_ieee_div_zero 0
		.amdhsa_exception_fp_ieee_overflow 0
		.amdhsa_exception_fp_ieee_underflow 0
		.amdhsa_exception_fp_ieee_inexact 0
		.amdhsa_exception_int_div_zero 0
	.end_amdhsa_kernel
	.section	.text._Z33tail_segmented_warp_reduce_kernelIfhLj28ELj7EENSt9enable_ifIXsr10test_utilsE35device_test_enabled_for_warp_size_vIXT2_EEEvE4typeEPT_PT0_S4_,"axG",@progbits,_Z33tail_segmented_warp_reduce_kernelIfhLj28ELj7EENSt9enable_ifIXsr10test_utilsE35device_test_enabled_for_warp_size_vIXT2_EEEvE4typeEPT_PT0_S4_,comdat
.Lfunc_end198:
	.size	_Z33tail_segmented_warp_reduce_kernelIfhLj28ELj7EENSt9enable_ifIXsr10test_utilsE35device_test_enabled_for_warp_size_vIXT2_EEEvE4typeEPT_PT0_S4_, .Lfunc_end198-_Z33tail_segmented_warp_reduce_kernelIfhLj28ELj7EENSt9enable_ifIXsr10test_utilsE35device_test_enabled_for_warp_size_vIXT2_EEEvE4typeEPT_PT0_S4_
                                        ; -- End function
	.section	.AMDGPU.csdata,"",@progbits
; Kernel info:
; codeLenInByte = 376
; NumSgprs: 18
; NumVgprs: 7
; ScratchSize: 0
; MemoryBound: 0
; FloatMode: 240
; IeeeMode: 1
; LDSByteSize: 112 bytes/workgroup (compile time only)
; SGPRBlocks: 2
; VGPRBlocks: 0
; NumSGPRsForWavesPerEU: 18
; NumVGPRsForWavesPerEU: 7
; Occupancy: 16
; WaveLimiterHint : 0
; COMPUTE_PGM_RSRC2:SCRATCH_EN: 0
; COMPUTE_PGM_RSRC2:USER_SGPR: 15
; COMPUTE_PGM_RSRC2:TRAP_HANDLER: 0
; COMPUTE_PGM_RSRC2:TGID_X_EN: 1
; COMPUTE_PGM_RSRC2:TGID_Y_EN: 0
; COMPUTE_PGM_RSRC2:TGID_Z_EN: 0
; COMPUTE_PGM_RSRC2:TIDIG_COMP_CNT: 0
	.section	.text._Z33tail_segmented_warp_reduce_kernelIfhLj63ELj7EENSt9enable_ifIXsr10test_utilsE35device_test_enabled_for_warp_size_vIXT2_EEEvE4typeEPT_PT0_S4_,"axG",@progbits,_Z33tail_segmented_warp_reduce_kernelIfhLj63ELj7EENSt9enable_ifIXsr10test_utilsE35device_test_enabled_for_warp_size_vIXT2_EEEvE4typeEPT_PT0_S4_,comdat
	.protected	_Z33tail_segmented_warp_reduce_kernelIfhLj63ELj7EENSt9enable_ifIXsr10test_utilsE35device_test_enabled_for_warp_size_vIXT2_EEEvE4typeEPT_PT0_S4_ ; -- Begin function _Z33tail_segmented_warp_reduce_kernelIfhLj63ELj7EENSt9enable_ifIXsr10test_utilsE35device_test_enabled_for_warp_size_vIXT2_EEEvE4typeEPT_PT0_S4_
	.globl	_Z33tail_segmented_warp_reduce_kernelIfhLj63ELj7EENSt9enable_ifIXsr10test_utilsE35device_test_enabled_for_warp_size_vIXT2_EEEvE4typeEPT_PT0_S4_
	.p2align	8
	.type	_Z33tail_segmented_warp_reduce_kernelIfhLj63ELj7EENSt9enable_ifIXsr10test_utilsE35device_test_enabled_for_warp_size_vIXT2_EEEvE4typeEPT_PT0_S4_,@function
_Z33tail_segmented_warp_reduce_kernelIfhLj63ELj7EENSt9enable_ifIXsr10test_utilsE35device_test_enabled_for_warp_size_vIXT2_EEEvE4typeEPT_PT0_S4_: ; @_Z33tail_segmented_warp_reduce_kernelIfhLj63ELj7EENSt9enable_ifIXsr10test_utilsE35device_test_enabled_for_warp_size_vIXT2_EEEvE4typeEPT_PT0_S4_
; %bb.0:
	s_clause 0x2
	s_load_b32 s2, s[0:1], 0x24
	s_load_b128 s[4:7], s[0:1], 0x0
	s_load_b64 s[0:1], s[0:1], 0x10
	s_waitcnt lgkmcnt(0)
	s_and_b32 s2, s2, 0xffff
	s_delay_alu instid0(SALU_CYCLE_1) | instskip(SKIP_3) | instid1(VALU_DEP_1)
	v_mad_u64_u32 v[1:2], null, s15, s2, v[0:1]
	v_mov_b32_e32 v2, 0
	v_mul_u32_u24_e32 v0, 0x2493, v0
	s_mov_b32 s2, exec_lo
	v_lshrrev_b32_e32 v0, 16, v0
	global_load_u8 v5, v1, s[6:7]
	v_lshlrev_b64 v[1:2], 2, v[1:2]
	s_delay_alu instid0(VALU_DEP_1) | instskip(NEXT) | instid1(VALU_DEP_2)
	v_add_co_u32 v3, vcc_lo, s4, v1
	v_add_co_ci_u32_e32 v4, vcc_lo, s5, v2, vcc_lo
	global_load_b32 v3, v[3:4], off
	v_mbcnt_lo_u32_b32 v4, -1, 0
	s_delay_alu instid0(VALU_DEP_1) | instskip(NEXT) | instid1(VALU_DEP_1)
	v_mul_hi_u32 v6, 0x24924925, v4
	v_mul_u32_u24_e32 v6, 7, v6
	s_waitcnt vmcnt(1)
	v_cmp_ne_u16_e32 vcc_lo, 0, v5
	v_lshlrev_b32_e64 v5, v4, -1
	s_delay_alu instid0(VALU_DEP_3) | instskip(NEXT) | instid1(VALU_DEP_2)
	v_sub_nc_u32_e32 v4, v4, v6
	v_and_b32_e32 v5, vcc_lo, v5
	s_delay_alu instid0(VALU_DEP_1) | instskip(NEXT) | instid1(VALU_DEP_3)
	v_lshrrev_b32_e32 v5, v6, v5
	v_lshlrev_b32_e32 v6, 2, v4
	s_delay_alu instid0(VALU_DEP_2) | instskip(NEXT) | instid1(VALU_DEP_2)
	v_or_b32_e32 v5, 64, v5
	v_mad_u32_u24 v0, v0, 28, v6
	s_delay_alu instid0(VALU_DEP_2)
	v_ctz_i32_b32_e32 v5, v5
	s_waitcnt vmcnt(0)
	ds_store_b32 v0, v3
	; wave barrier
	v_cmpx_lt_u32_e64 v4, v5
	s_cbranch_execz .LBB199_2
; %bb.1:
	ds_load_b32 v6, v0 offset:4
	s_waitcnt lgkmcnt(0)
	v_add_f32_e32 v3, v3, v6
.LBB199_2:
	s_or_b32 exec_lo, exec_lo, s2
	v_add_nc_u32_e32 v6, 2, v4
	s_mov_b32 s2, exec_lo
	; wave barrier
	ds_store_b32 v0, v3
	; wave barrier
	v_cmpx_le_u32_e64 v6, v5
	s_cbranch_execz .LBB199_4
; %bb.3:
	ds_load_b32 v6, v0 offset:8
	s_waitcnt lgkmcnt(0)
	v_add_f32_e32 v3, v3, v6
.LBB199_4:
	s_or_b32 exec_lo, exec_lo, s2
	v_add_nc_u32_e32 v4, 4, v4
	s_mov_b32 s2, exec_lo
	; wave barrier
	ds_store_b32 v0, v3
	; wave barrier
	v_cmpx_le_u32_e64 v4, v5
	s_cbranch_execz .LBB199_6
; %bb.5:
	ds_load_b32 v0, v0 offset:16
	s_waitcnt lgkmcnt(0)
	v_add_f32_e32 v3, v3, v0
.LBB199_6:
	s_or_b32 exec_lo, exec_lo, s2
	v_add_co_u32 v0, vcc_lo, s0, v1
	v_add_co_ci_u32_e32 v1, vcc_lo, s1, v2, vcc_lo
	; wave barrier
	global_store_b32 v[0:1], v3, off
	s_nop 0
	s_sendmsg sendmsg(MSG_DEALLOC_VGPRS)
	s_endpgm
	.section	.rodata,"a",@progbits
	.p2align	6, 0x0
	.amdhsa_kernel _Z33tail_segmented_warp_reduce_kernelIfhLj63ELj7EENSt9enable_ifIXsr10test_utilsE35device_test_enabled_for_warp_size_vIXT2_EEEvE4typeEPT_PT0_S4_
		.amdhsa_group_segment_fixed_size 252
		.amdhsa_private_segment_fixed_size 0
		.amdhsa_kernarg_size 280
		.amdhsa_user_sgpr_count 15
		.amdhsa_user_sgpr_dispatch_ptr 0
		.amdhsa_user_sgpr_queue_ptr 0
		.amdhsa_user_sgpr_kernarg_segment_ptr 1
		.amdhsa_user_sgpr_dispatch_id 0
		.amdhsa_user_sgpr_private_segment_size 0
		.amdhsa_wavefront_size32 1
		.amdhsa_uses_dynamic_stack 0
		.amdhsa_enable_private_segment 0
		.amdhsa_system_sgpr_workgroup_id_x 1
		.amdhsa_system_sgpr_workgroup_id_y 0
		.amdhsa_system_sgpr_workgroup_id_z 0
		.amdhsa_system_sgpr_workgroup_info 0
		.amdhsa_system_vgpr_workitem_id 0
		.amdhsa_next_free_vgpr 7
		.amdhsa_next_free_sgpr 16
		.amdhsa_reserve_vcc 1
		.amdhsa_float_round_mode_32 0
		.amdhsa_float_round_mode_16_64 0
		.amdhsa_float_denorm_mode_32 3
		.amdhsa_float_denorm_mode_16_64 3
		.amdhsa_dx10_clamp 1
		.amdhsa_ieee_mode 1
		.amdhsa_fp16_overflow 0
		.amdhsa_workgroup_processor_mode 1
		.amdhsa_memory_ordered 1
		.amdhsa_forward_progress 0
		.amdhsa_shared_vgpr_count 0
		.amdhsa_exception_fp_ieee_invalid_op 0
		.amdhsa_exception_fp_denorm_src 0
		.amdhsa_exception_fp_ieee_div_zero 0
		.amdhsa_exception_fp_ieee_overflow 0
		.amdhsa_exception_fp_ieee_underflow 0
		.amdhsa_exception_fp_ieee_inexact 0
		.amdhsa_exception_int_div_zero 0
	.end_amdhsa_kernel
	.section	.text._Z33tail_segmented_warp_reduce_kernelIfhLj63ELj7EENSt9enable_ifIXsr10test_utilsE35device_test_enabled_for_warp_size_vIXT2_EEEvE4typeEPT_PT0_S4_,"axG",@progbits,_Z33tail_segmented_warp_reduce_kernelIfhLj63ELj7EENSt9enable_ifIXsr10test_utilsE35device_test_enabled_for_warp_size_vIXT2_EEEvE4typeEPT_PT0_S4_,comdat
.Lfunc_end199:
	.size	_Z33tail_segmented_warp_reduce_kernelIfhLj63ELj7EENSt9enable_ifIXsr10test_utilsE35device_test_enabled_for_warp_size_vIXT2_EEEvE4typeEPT_PT0_S4_, .Lfunc_end199-_Z33tail_segmented_warp_reduce_kernelIfhLj63ELj7EENSt9enable_ifIXsr10test_utilsE35device_test_enabled_for_warp_size_vIXT2_EEEvE4typeEPT_PT0_S4_
                                        ; -- End function
	.section	.AMDGPU.csdata,"",@progbits
; Kernel info:
; codeLenInByte = 376
; NumSgprs: 18
; NumVgprs: 7
; ScratchSize: 0
; MemoryBound: 0
; FloatMode: 240
; IeeeMode: 1
; LDSByteSize: 252 bytes/workgroup (compile time only)
; SGPRBlocks: 2
; VGPRBlocks: 0
; NumSGPRsForWavesPerEU: 18
; NumVGPRsForWavesPerEU: 7
; Occupancy: 16
; WaveLimiterHint : 0
; COMPUTE_PGM_RSRC2:SCRATCH_EN: 0
; COMPUTE_PGM_RSRC2:USER_SGPR: 15
; COMPUTE_PGM_RSRC2:TRAP_HANDLER: 0
; COMPUTE_PGM_RSRC2:TGID_X_EN: 1
; COMPUTE_PGM_RSRC2:TGID_Y_EN: 0
; COMPUTE_PGM_RSRC2:TGID_Z_EN: 0
; COMPUTE_PGM_RSRC2:TIDIG_COMP_CNT: 0
	.section	.text._Z33tail_segmented_warp_reduce_kernelIfhLj30ELj3EENSt9enable_ifIXsr10test_utilsE35device_test_enabled_for_warp_size_vIXT2_EEEvE4typeEPT_PT0_S4_,"axG",@progbits,_Z33tail_segmented_warp_reduce_kernelIfhLj30ELj3EENSt9enable_ifIXsr10test_utilsE35device_test_enabled_for_warp_size_vIXT2_EEEvE4typeEPT_PT0_S4_,comdat
	.protected	_Z33tail_segmented_warp_reduce_kernelIfhLj30ELj3EENSt9enable_ifIXsr10test_utilsE35device_test_enabled_for_warp_size_vIXT2_EEEvE4typeEPT_PT0_S4_ ; -- Begin function _Z33tail_segmented_warp_reduce_kernelIfhLj30ELj3EENSt9enable_ifIXsr10test_utilsE35device_test_enabled_for_warp_size_vIXT2_EEEvE4typeEPT_PT0_S4_
	.globl	_Z33tail_segmented_warp_reduce_kernelIfhLj30ELj3EENSt9enable_ifIXsr10test_utilsE35device_test_enabled_for_warp_size_vIXT2_EEEvE4typeEPT_PT0_S4_
	.p2align	8
	.type	_Z33tail_segmented_warp_reduce_kernelIfhLj30ELj3EENSt9enable_ifIXsr10test_utilsE35device_test_enabled_for_warp_size_vIXT2_EEEvE4typeEPT_PT0_S4_,@function
_Z33tail_segmented_warp_reduce_kernelIfhLj30ELj3EENSt9enable_ifIXsr10test_utilsE35device_test_enabled_for_warp_size_vIXT2_EEEvE4typeEPT_PT0_S4_: ; @_Z33tail_segmented_warp_reduce_kernelIfhLj30ELj3EENSt9enable_ifIXsr10test_utilsE35device_test_enabled_for_warp_size_vIXT2_EEEvE4typeEPT_PT0_S4_
; %bb.0:
	s_clause 0x2
	s_load_b32 s2, s[0:1], 0x24
	s_load_b128 s[4:7], s[0:1], 0x0
	s_load_b64 s[0:1], s[0:1], 0x10
	s_waitcnt lgkmcnt(0)
	s_and_b32 s2, s2, 0xffff
	s_delay_alu instid0(SALU_CYCLE_1) | instskip(SKIP_3) | instid1(VALU_DEP_1)
	v_mad_u64_u32 v[1:2], null, s15, s2, v[0:1]
	v_mov_b32_e32 v2, 0
	v_mul_u32_u24_e32 v0, 0x5556, v0
	s_mov_b32 s2, exec_lo
	v_lshrrev_b32_e32 v0, 16, v0
	global_load_u8 v5, v1, s[6:7]
	v_lshlrev_b64 v[1:2], 2, v[1:2]
	s_delay_alu instid0(VALU_DEP_1) | instskip(NEXT) | instid1(VALU_DEP_2)
	v_add_co_u32 v3, vcc_lo, s4, v1
	v_add_co_ci_u32_e32 v4, vcc_lo, s5, v2, vcc_lo
	global_load_b32 v3, v[3:4], off
	v_mbcnt_lo_u32_b32 v4, -1, 0
	s_delay_alu instid0(VALU_DEP_1) | instskip(NEXT) | instid1(VALU_DEP_1)
	v_mul_hi_u32 v6, 0x55555556, v4
	v_mul_u32_u24_e32 v6, 3, v6
	s_waitcnt vmcnt(1)
	v_cmp_ne_u16_e32 vcc_lo, 0, v5
	v_lshlrev_b32_e64 v5, v4, -1
	s_delay_alu instid0(VALU_DEP_3) | instskip(NEXT) | instid1(VALU_DEP_2)
	v_sub_nc_u32_e32 v4, v4, v6
	v_and_b32_e32 v5, vcc_lo, v5
	s_delay_alu instid0(VALU_DEP_1) | instskip(NEXT) | instid1(VALU_DEP_3)
	v_lshrrev_b32_e32 v5, v6, v5
	v_lshlrev_b32_e32 v6, 2, v4
	s_delay_alu instid0(VALU_DEP_2) | instskip(NEXT) | instid1(VALU_DEP_2)
	v_or_b32_e32 v5, 4, v5
	v_mad_u32_u24 v0, v0, 12, v6
	s_delay_alu instid0(VALU_DEP_2)
	v_ctz_i32_b32_e32 v5, v5
	s_waitcnt vmcnt(0)
	ds_store_b32 v0, v3
	; wave barrier
	v_cmpx_lt_u32_e64 v4, v5
	s_cbranch_execz .LBB200_2
; %bb.1:
	ds_load_b32 v6, v0 offset:4
	s_waitcnt lgkmcnt(0)
	v_add_f32_e32 v3, v3, v6
.LBB200_2:
	s_or_b32 exec_lo, exec_lo, s2
	v_add_nc_u32_e32 v4, 2, v4
	s_mov_b32 s2, exec_lo
	; wave barrier
	ds_store_b32 v0, v3
	; wave barrier
	v_cmpx_le_u32_e64 v4, v5
	s_cbranch_execz .LBB200_4
; %bb.3:
	ds_load_b32 v0, v0 offset:8
	s_waitcnt lgkmcnt(0)
	v_add_f32_e32 v3, v3, v0
.LBB200_4:
	s_or_b32 exec_lo, exec_lo, s2
	v_add_co_u32 v0, vcc_lo, s0, v1
	v_add_co_ci_u32_e32 v1, vcc_lo, s1, v2, vcc_lo
	; wave barrier
	global_store_b32 v[0:1], v3, off
	s_nop 0
	s_sendmsg sendmsg(MSG_DEALLOC_VGPRS)
	s_endpgm
	.section	.rodata,"a",@progbits
	.p2align	6, 0x0
	.amdhsa_kernel _Z33tail_segmented_warp_reduce_kernelIfhLj30ELj3EENSt9enable_ifIXsr10test_utilsE35device_test_enabled_for_warp_size_vIXT2_EEEvE4typeEPT_PT0_S4_
		.amdhsa_group_segment_fixed_size 120
		.amdhsa_private_segment_fixed_size 0
		.amdhsa_kernarg_size 280
		.amdhsa_user_sgpr_count 15
		.amdhsa_user_sgpr_dispatch_ptr 0
		.amdhsa_user_sgpr_queue_ptr 0
		.amdhsa_user_sgpr_kernarg_segment_ptr 1
		.amdhsa_user_sgpr_dispatch_id 0
		.amdhsa_user_sgpr_private_segment_size 0
		.amdhsa_wavefront_size32 1
		.amdhsa_uses_dynamic_stack 0
		.amdhsa_enable_private_segment 0
		.amdhsa_system_sgpr_workgroup_id_x 1
		.amdhsa_system_sgpr_workgroup_id_y 0
		.amdhsa_system_sgpr_workgroup_id_z 0
		.amdhsa_system_sgpr_workgroup_info 0
		.amdhsa_system_vgpr_workitem_id 0
		.amdhsa_next_free_vgpr 7
		.amdhsa_next_free_sgpr 16
		.amdhsa_reserve_vcc 1
		.amdhsa_float_round_mode_32 0
		.amdhsa_float_round_mode_16_64 0
		.amdhsa_float_denorm_mode_32 3
		.amdhsa_float_denorm_mode_16_64 3
		.amdhsa_dx10_clamp 1
		.amdhsa_ieee_mode 1
		.amdhsa_fp16_overflow 0
		.amdhsa_workgroup_processor_mode 1
		.amdhsa_memory_ordered 1
		.amdhsa_forward_progress 0
		.amdhsa_shared_vgpr_count 0
		.amdhsa_exception_fp_ieee_invalid_op 0
		.amdhsa_exception_fp_denorm_src 0
		.amdhsa_exception_fp_ieee_div_zero 0
		.amdhsa_exception_fp_ieee_overflow 0
		.amdhsa_exception_fp_ieee_underflow 0
		.amdhsa_exception_fp_ieee_inexact 0
		.amdhsa_exception_int_div_zero 0
	.end_amdhsa_kernel
	.section	.text._Z33tail_segmented_warp_reduce_kernelIfhLj30ELj3EENSt9enable_ifIXsr10test_utilsE35device_test_enabled_for_warp_size_vIXT2_EEEvE4typeEPT_PT0_S4_,"axG",@progbits,_Z33tail_segmented_warp_reduce_kernelIfhLj30ELj3EENSt9enable_ifIXsr10test_utilsE35device_test_enabled_for_warp_size_vIXT2_EEEvE4typeEPT_PT0_S4_,comdat
.Lfunc_end200:
	.size	_Z33tail_segmented_warp_reduce_kernelIfhLj30ELj3EENSt9enable_ifIXsr10test_utilsE35device_test_enabled_for_warp_size_vIXT2_EEEvE4typeEPT_PT0_S4_, .Lfunc_end200-_Z33tail_segmented_warp_reduce_kernelIfhLj30ELj3EENSt9enable_ifIXsr10test_utilsE35device_test_enabled_for_warp_size_vIXT2_EEEvE4typeEPT_PT0_S4_
                                        ; -- End function
	.section	.AMDGPU.csdata,"",@progbits
; Kernel info:
; codeLenInByte = 328
; NumSgprs: 18
; NumVgprs: 7
; ScratchSize: 0
; MemoryBound: 0
; FloatMode: 240
; IeeeMode: 1
; LDSByteSize: 120 bytes/workgroup (compile time only)
; SGPRBlocks: 2
; VGPRBlocks: 0
; NumSGPRsForWavesPerEU: 18
; NumVGPRsForWavesPerEU: 7
; Occupancy: 16
; WaveLimiterHint : 0
; COMPUTE_PGM_RSRC2:SCRATCH_EN: 0
; COMPUTE_PGM_RSRC2:USER_SGPR: 15
; COMPUTE_PGM_RSRC2:TRAP_HANDLER: 0
; COMPUTE_PGM_RSRC2:TGID_X_EN: 1
; COMPUTE_PGM_RSRC2:TGID_Y_EN: 0
; COMPUTE_PGM_RSRC2:TGID_Z_EN: 0
; COMPUTE_PGM_RSRC2:TIDIG_COMP_CNT: 0
	.section	.text._Z33tail_segmented_warp_reduce_kernelIfhLj63ELj3EENSt9enable_ifIXsr10test_utilsE35device_test_enabled_for_warp_size_vIXT2_EEEvE4typeEPT_PT0_S4_,"axG",@progbits,_Z33tail_segmented_warp_reduce_kernelIfhLj63ELj3EENSt9enable_ifIXsr10test_utilsE35device_test_enabled_for_warp_size_vIXT2_EEEvE4typeEPT_PT0_S4_,comdat
	.protected	_Z33tail_segmented_warp_reduce_kernelIfhLj63ELj3EENSt9enable_ifIXsr10test_utilsE35device_test_enabled_for_warp_size_vIXT2_EEEvE4typeEPT_PT0_S4_ ; -- Begin function _Z33tail_segmented_warp_reduce_kernelIfhLj63ELj3EENSt9enable_ifIXsr10test_utilsE35device_test_enabled_for_warp_size_vIXT2_EEEvE4typeEPT_PT0_S4_
	.globl	_Z33tail_segmented_warp_reduce_kernelIfhLj63ELj3EENSt9enable_ifIXsr10test_utilsE35device_test_enabled_for_warp_size_vIXT2_EEEvE4typeEPT_PT0_S4_
	.p2align	8
	.type	_Z33tail_segmented_warp_reduce_kernelIfhLj63ELj3EENSt9enable_ifIXsr10test_utilsE35device_test_enabled_for_warp_size_vIXT2_EEEvE4typeEPT_PT0_S4_,@function
_Z33tail_segmented_warp_reduce_kernelIfhLj63ELj3EENSt9enable_ifIXsr10test_utilsE35device_test_enabled_for_warp_size_vIXT2_EEEvE4typeEPT_PT0_S4_: ; @_Z33tail_segmented_warp_reduce_kernelIfhLj63ELj3EENSt9enable_ifIXsr10test_utilsE35device_test_enabled_for_warp_size_vIXT2_EEEvE4typeEPT_PT0_S4_
; %bb.0:
	s_clause 0x2
	s_load_b32 s2, s[0:1], 0x24
	s_load_b128 s[4:7], s[0:1], 0x0
	s_load_b64 s[0:1], s[0:1], 0x10
	s_waitcnt lgkmcnt(0)
	s_and_b32 s2, s2, 0xffff
	s_delay_alu instid0(SALU_CYCLE_1) | instskip(SKIP_3) | instid1(VALU_DEP_1)
	v_mad_u64_u32 v[1:2], null, s15, s2, v[0:1]
	v_mov_b32_e32 v2, 0
	v_mul_u32_u24_e32 v0, 0x5556, v0
	s_mov_b32 s2, exec_lo
	v_lshrrev_b32_e32 v0, 16, v0
	global_load_u8 v5, v1, s[6:7]
	v_lshlrev_b64 v[1:2], 2, v[1:2]
	s_delay_alu instid0(VALU_DEP_1) | instskip(NEXT) | instid1(VALU_DEP_2)
	v_add_co_u32 v3, vcc_lo, s4, v1
	v_add_co_ci_u32_e32 v4, vcc_lo, s5, v2, vcc_lo
	global_load_b32 v3, v[3:4], off
	v_mbcnt_lo_u32_b32 v4, -1, 0
	s_delay_alu instid0(VALU_DEP_1) | instskip(NEXT) | instid1(VALU_DEP_1)
	v_mul_hi_u32 v6, 0x55555556, v4
	v_mul_u32_u24_e32 v6, 3, v6
	s_waitcnt vmcnt(1)
	v_cmp_ne_u16_e32 vcc_lo, 0, v5
	v_lshlrev_b32_e64 v5, v4, -1
	s_delay_alu instid0(VALU_DEP_3) | instskip(NEXT) | instid1(VALU_DEP_2)
	v_sub_nc_u32_e32 v4, v4, v6
	v_and_b32_e32 v5, vcc_lo, v5
	s_delay_alu instid0(VALU_DEP_1) | instskip(NEXT) | instid1(VALU_DEP_3)
	v_lshrrev_b32_e32 v5, v6, v5
	v_lshlrev_b32_e32 v6, 2, v4
	s_delay_alu instid0(VALU_DEP_2) | instskip(NEXT) | instid1(VALU_DEP_2)
	v_or_b32_e32 v5, 4, v5
	v_mad_u32_u24 v0, v0, 12, v6
	s_delay_alu instid0(VALU_DEP_2)
	v_ctz_i32_b32_e32 v5, v5
	s_waitcnt vmcnt(0)
	ds_store_b32 v0, v3
	; wave barrier
	v_cmpx_lt_u32_e64 v4, v5
	s_cbranch_execz .LBB201_2
; %bb.1:
	ds_load_b32 v6, v0 offset:4
	s_waitcnt lgkmcnt(0)
	v_add_f32_e32 v3, v3, v6
.LBB201_2:
	s_or_b32 exec_lo, exec_lo, s2
	v_add_nc_u32_e32 v4, 2, v4
	s_mov_b32 s2, exec_lo
	; wave barrier
	ds_store_b32 v0, v3
	; wave barrier
	v_cmpx_le_u32_e64 v4, v5
	s_cbranch_execz .LBB201_4
; %bb.3:
	ds_load_b32 v0, v0 offset:8
	s_waitcnt lgkmcnt(0)
	v_add_f32_e32 v3, v3, v0
.LBB201_4:
	s_or_b32 exec_lo, exec_lo, s2
	v_add_co_u32 v0, vcc_lo, s0, v1
	v_add_co_ci_u32_e32 v1, vcc_lo, s1, v2, vcc_lo
	; wave barrier
	global_store_b32 v[0:1], v3, off
	s_nop 0
	s_sendmsg sendmsg(MSG_DEALLOC_VGPRS)
	s_endpgm
	.section	.rodata,"a",@progbits
	.p2align	6, 0x0
	.amdhsa_kernel _Z33tail_segmented_warp_reduce_kernelIfhLj63ELj3EENSt9enable_ifIXsr10test_utilsE35device_test_enabled_for_warp_size_vIXT2_EEEvE4typeEPT_PT0_S4_
		.amdhsa_group_segment_fixed_size 252
		.amdhsa_private_segment_fixed_size 0
		.amdhsa_kernarg_size 280
		.amdhsa_user_sgpr_count 15
		.amdhsa_user_sgpr_dispatch_ptr 0
		.amdhsa_user_sgpr_queue_ptr 0
		.amdhsa_user_sgpr_kernarg_segment_ptr 1
		.amdhsa_user_sgpr_dispatch_id 0
		.amdhsa_user_sgpr_private_segment_size 0
		.amdhsa_wavefront_size32 1
		.amdhsa_uses_dynamic_stack 0
		.amdhsa_enable_private_segment 0
		.amdhsa_system_sgpr_workgroup_id_x 1
		.amdhsa_system_sgpr_workgroup_id_y 0
		.amdhsa_system_sgpr_workgroup_id_z 0
		.amdhsa_system_sgpr_workgroup_info 0
		.amdhsa_system_vgpr_workitem_id 0
		.amdhsa_next_free_vgpr 7
		.amdhsa_next_free_sgpr 16
		.amdhsa_reserve_vcc 1
		.amdhsa_float_round_mode_32 0
		.amdhsa_float_round_mode_16_64 0
		.amdhsa_float_denorm_mode_32 3
		.amdhsa_float_denorm_mode_16_64 3
		.amdhsa_dx10_clamp 1
		.amdhsa_ieee_mode 1
		.amdhsa_fp16_overflow 0
		.amdhsa_workgroup_processor_mode 1
		.amdhsa_memory_ordered 1
		.amdhsa_forward_progress 0
		.amdhsa_shared_vgpr_count 0
		.amdhsa_exception_fp_ieee_invalid_op 0
		.amdhsa_exception_fp_denorm_src 0
		.amdhsa_exception_fp_ieee_div_zero 0
		.amdhsa_exception_fp_ieee_overflow 0
		.amdhsa_exception_fp_ieee_underflow 0
		.amdhsa_exception_fp_ieee_inexact 0
		.amdhsa_exception_int_div_zero 0
	.end_amdhsa_kernel
	.section	.text._Z33tail_segmented_warp_reduce_kernelIfhLj63ELj3EENSt9enable_ifIXsr10test_utilsE35device_test_enabled_for_warp_size_vIXT2_EEEvE4typeEPT_PT0_S4_,"axG",@progbits,_Z33tail_segmented_warp_reduce_kernelIfhLj63ELj3EENSt9enable_ifIXsr10test_utilsE35device_test_enabled_for_warp_size_vIXT2_EEEvE4typeEPT_PT0_S4_,comdat
.Lfunc_end201:
	.size	_Z33tail_segmented_warp_reduce_kernelIfhLj63ELj3EENSt9enable_ifIXsr10test_utilsE35device_test_enabled_for_warp_size_vIXT2_EEEvE4typeEPT_PT0_S4_, .Lfunc_end201-_Z33tail_segmented_warp_reduce_kernelIfhLj63ELj3EENSt9enable_ifIXsr10test_utilsE35device_test_enabled_for_warp_size_vIXT2_EEEvE4typeEPT_PT0_S4_
                                        ; -- End function
	.section	.AMDGPU.csdata,"",@progbits
; Kernel info:
; codeLenInByte = 328
; NumSgprs: 18
; NumVgprs: 7
; ScratchSize: 0
; MemoryBound: 0
; FloatMode: 240
; IeeeMode: 1
; LDSByteSize: 252 bytes/workgroup (compile time only)
; SGPRBlocks: 2
; VGPRBlocks: 0
; NumSGPRsForWavesPerEU: 18
; NumVGPRsForWavesPerEU: 7
; Occupancy: 16
; WaveLimiterHint : 0
; COMPUTE_PGM_RSRC2:SCRATCH_EN: 0
; COMPUTE_PGM_RSRC2:USER_SGPR: 15
; COMPUTE_PGM_RSRC2:TRAP_HANDLER: 0
; COMPUTE_PGM_RSRC2:TGID_X_EN: 1
; COMPUTE_PGM_RSRC2:TGID_Y_EN: 0
; COMPUTE_PGM_RSRC2:TGID_Z_EN: 0
; COMPUTE_PGM_RSRC2:TIDIG_COMP_CNT: 0
	.section	.text._Z33tail_segmented_warp_reduce_kernelIihLj1ELj61EENSt9enable_ifIXntsr10test_utilsE35device_test_enabled_for_warp_size_vIXT2_EEEvE4typeEPT_PT0_S4_,"axG",@progbits,_Z33tail_segmented_warp_reduce_kernelIihLj1ELj61EENSt9enable_ifIXntsr10test_utilsE35device_test_enabled_for_warp_size_vIXT2_EEEvE4typeEPT_PT0_S4_,comdat
	.protected	_Z33tail_segmented_warp_reduce_kernelIihLj1ELj61EENSt9enable_ifIXntsr10test_utilsE35device_test_enabled_for_warp_size_vIXT2_EEEvE4typeEPT_PT0_S4_ ; -- Begin function _Z33tail_segmented_warp_reduce_kernelIihLj1ELj61EENSt9enable_ifIXntsr10test_utilsE35device_test_enabled_for_warp_size_vIXT2_EEEvE4typeEPT_PT0_S4_
	.globl	_Z33tail_segmented_warp_reduce_kernelIihLj1ELj61EENSt9enable_ifIXntsr10test_utilsE35device_test_enabled_for_warp_size_vIXT2_EEEvE4typeEPT_PT0_S4_
	.p2align	8
	.type	_Z33tail_segmented_warp_reduce_kernelIihLj1ELj61EENSt9enable_ifIXntsr10test_utilsE35device_test_enabled_for_warp_size_vIXT2_EEEvE4typeEPT_PT0_S4_,@function
_Z33tail_segmented_warp_reduce_kernelIihLj1ELj61EENSt9enable_ifIXntsr10test_utilsE35device_test_enabled_for_warp_size_vIXT2_EEEvE4typeEPT_PT0_S4_: ; @_Z33tail_segmented_warp_reduce_kernelIihLj1ELj61EENSt9enable_ifIXntsr10test_utilsE35device_test_enabled_for_warp_size_vIXT2_EEEvE4typeEPT_PT0_S4_
; %bb.0:
	s_endpgm
	.section	.rodata,"a",@progbits
	.p2align	6, 0x0
	.amdhsa_kernel _Z33tail_segmented_warp_reduce_kernelIihLj1ELj61EENSt9enable_ifIXntsr10test_utilsE35device_test_enabled_for_warp_size_vIXT2_EEEvE4typeEPT_PT0_S4_
		.amdhsa_group_segment_fixed_size 0
		.amdhsa_private_segment_fixed_size 0
		.amdhsa_kernarg_size 24
		.amdhsa_user_sgpr_count 15
		.amdhsa_user_sgpr_dispatch_ptr 0
		.amdhsa_user_sgpr_queue_ptr 0
		.amdhsa_user_sgpr_kernarg_segment_ptr 1
		.amdhsa_user_sgpr_dispatch_id 0
		.amdhsa_user_sgpr_private_segment_size 0
		.amdhsa_wavefront_size32 1
		.amdhsa_uses_dynamic_stack 0
		.amdhsa_enable_private_segment 0
		.amdhsa_system_sgpr_workgroup_id_x 1
		.amdhsa_system_sgpr_workgroup_id_y 0
		.amdhsa_system_sgpr_workgroup_id_z 0
		.amdhsa_system_sgpr_workgroup_info 0
		.amdhsa_system_vgpr_workitem_id 0
		.amdhsa_next_free_vgpr 1
		.amdhsa_next_free_sgpr 1
		.amdhsa_reserve_vcc 0
		.amdhsa_float_round_mode_32 0
		.amdhsa_float_round_mode_16_64 0
		.amdhsa_float_denorm_mode_32 3
		.amdhsa_float_denorm_mode_16_64 3
		.amdhsa_dx10_clamp 1
		.amdhsa_ieee_mode 1
		.amdhsa_fp16_overflow 0
		.amdhsa_workgroup_processor_mode 1
		.amdhsa_memory_ordered 1
		.amdhsa_forward_progress 0
		.amdhsa_shared_vgpr_count 0
		.amdhsa_exception_fp_ieee_invalid_op 0
		.amdhsa_exception_fp_denorm_src 0
		.amdhsa_exception_fp_ieee_div_zero 0
		.amdhsa_exception_fp_ieee_overflow 0
		.amdhsa_exception_fp_ieee_underflow 0
		.amdhsa_exception_fp_ieee_inexact 0
		.amdhsa_exception_int_div_zero 0
	.end_amdhsa_kernel
	.section	.text._Z33tail_segmented_warp_reduce_kernelIihLj1ELj61EENSt9enable_ifIXntsr10test_utilsE35device_test_enabled_for_warp_size_vIXT2_EEEvE4typeEPT_PT0_S4_,"axG",@progbits,_Z33tail_segmented_warp_reduce_kernelIihLj1ELj61EENSt9enable_ifIXntsr10test_utilsE35device_test_enabled_for_warp_size_vIXT2_EEEvE4typeEPT_PT0_S4_,comdat
.Lfunc_end202:
	.size	_Z33tail_segmented_warp_reduce_kernelIihLj1ELj61EENSt9enable_ifIXntsr10test_utilsE35device_test_enabled_for_warp_size_vIXT2_EEEvE4typeEPT_PT0_S4_, .Lfunc_end202-_Z33tail_segmented_warp_reduce_kernelIihLj1ELj61EENSt9enable_ifIXntsr10test_utilsE35device_test_enabled_for_warp_size_vIXT2_EEEvE4typeEPT_PT0_S4_
                                        ; -- End function
	.section	.AMDGPU.csdata,"",@progbits
; Kernel info:
; codeLenInByte = 4
; NumSgprs: 0
; NumVgprs: 0
; ScratchSize: 0
; MemoryBound: 0
; FloatMode: 240
; IeeeMode: 1
; LDSByteSize: 0 bytes/workgroup (compile time only)
; SGPRBlocks: 0
; VGPRBlocks: 0
; NumSGPRsForWavesPerEU: 1
; NumVGPRsForWavesPerEU: 1
; Occupancy: 16
; WaveLimiterHint : 0
; COMPUTE_PGM_RSRC2:SCRATCH_EN: 0
; COMPUTE_PGM_RSRC2:USER_SGPR: 15
; COMPUTE_PGM_RSRC2:TRAP_HANDLER: 0
; COMPUTE_PGM_RSRC2:TGID_X_EN: 1
; COMPUTE_PGM_RSRC2:TGID_Y_EN: 0
; COMPUTE_PGM_RSRC2:TGID_Z_EN: 0
; COMPUTE_PGM_RSRC2:TIDIG_COMP_CNT: 0
	.section	.text._Z33tail_segmented_warp_reduce_kernelIihLj61ELj61EENSt9enable_ifIXntsr10test_utilsE35device_test_enabled_for_warp_size_vIXT2_EEEvE4typeEPT_PT0_S4_,"axG",@progbits,_Z33tail_segmented_warp_reduce_kernelIihLj61ELj61EENSt9enable_ifIXntsr10test_utilsE35device_test_enabled_for_warp_size_vIXT2_EEEvE4typeEPT_PT0_S4_,comdat
	.protected	_Z33tail_segmented_warp_reduce_kernelIihLj61ELj61EENSt9enable_ifIXntsr10test_utilsE35device_test_enabled_for_warp_size_vIXT2_EEEvE4typeEPT_PT0_S4_ ; -- Begin function _Z33tail_segmented_warp_reduce_kernelIihLj61ELj61EENSt9enable_ifIXntsr10test_utilsE35device_test_enabled_for_warp_size_vIXT2_EEEvE4typeEPT_PT0_S4_
	.globl	_Z33tail_segmented_warp_reduce_kernelIihLj61ELj61EENSt9enable_ifIXntsr10test_utilsE35device_test_enabled_for_warp_size_vIXT2_EEEvE4typeEPT_PT0_S4_
	.p2align	8
	.type	_Z33tail_segmented_warp_reduce_kernelIihLj61ELj61EENSt9enable_ifIXntsr10test_utilsE35device_test_enabled_for_warp_size_vIXT2_EEEvE4typeEPT_PT0_S4_,@function
_Z33tail_segmented_warp_reduce_kernelIihLj61ELj61EENSt9enable_ifIXntsr10test_utilsE35device_test_enabled_for_warp_size_vIXT2_EEEvE4typeEPT_PT0_S4_: ; @_Z33tail_segmented_warp_reduce_kernelIihLj61ELj61EENSt9enable_ifIXntsr10test_utilsE35device_test_enabled_for_warp_size_vIXT2_EEEvE4typeEPT_PT0_S4_
; %bb.0:
	s_endpgm
	.section	.rodata,"a",@progbits
	.p2align	6, 0x0
	.amdhsa_kernel _Z33tail_segmented_warp_reduce_kernelIihLj61ELj61EENSt9enable_ifIXntsr10test_utilsE35device_test_enabled_for_warp_size_vIXT2_EEEvE4typeEPT_PT0_S4_
		.amdhsa_group_segment_fixed_size 0
		.amdhsa_private_segment_fixed_size 0
		.amdhsa_kernarg_size 24
		.amdhsa_user_sgpr_count 15
		.amdhsa_user_sgpr_dispatch_ptr 0
		.amdhsa_user_sgpr_queue_ptr 0
		.amdhsa_user_sgpr_kernarg_segment_ptr 1
		.amdhsa_user_sgpr_dispatch_id 0
		.amdhsa_user_sgpr_private_segment_size 0
		.amdhsa_wavefront_size32 1
		.amdhsa_uses_dynamic_stack 0
		.amdhsa_enable_private_segment 0
		.amdhsa_system_sgpr_workgroup_id_x 1
		.amdhsa_system_sgpr_workgroup_id_y 0
		.amdhsa_system_sgpr_workgroup_id_z 0
		.amdhsa_system_sgpr_workgroup_info 0
		.amdhsa_system_vgpr_workitem_id 0
		.amdhsa_next_free_vgpr 1
		.amdhsa_next_free_sgpr 1
		.amdhsa_reserve_vcc 0
		.amdhsa_float_round_mode_32 0
		.amdhsa_float_round_mode_16_64 0
		.amdhsa_float_denorm_mode_32 3
		.amdhsa_float_denorm_mode_16_64 3
		.amdhsa_dx10_clamp 1
		.amdhsa_ieee_mode 1
		.amdhsa_fp16_overflow 0
		.amdhsa_workgroup_processor_mode 1
		.amdhsa_memory_ordered 1
		.amdhsa_forward_progress 0
		.amdhsa_shared_vgpr_count 0
		.amdhsa_exception_fp_ieee_invalid_op 0
		.amdhsa_exception_fp_denorm_src 0
		.amdhsa_exception_fp_ieee_div_zero 0
		.amdhsa_exception_fp_ieee_overflow 0
		.amdhsa_exception_fp_ieee_underflow 0
		.amdhsa_exception_fp_ieee_inexact 0
		.amdhsa_exception_int_div_zero 0
	.end_amdhsa_kernel
	.section	.text._Z33tail_segmented_warp_reduce_kernelIihLj61ELj61EENSt9enable_ifIXntsr10test_utilsE35device_test_enabled_for_warp_size_vIXT2_EEEvE4typeEPT_PT0_S4_,"axG",@progbits,_Z33tail_segmented_warp_reduce_kernelIihLj61ELj61EENSt9enable_ifIXntsr10test_utilsE35device_test_enabled_for_warp_size_vIXT2_EEEvE4typeEPT_PT0_S4_,comdat
.Lfunc_end203:
	.size	_Z33tail_segmented_warp_reduce_kernelIihLj61ELj61EENSt9enable_ifIXntsr10test_utilsE35device_test_enabled_for_warp_size_vIXT2_EEEvE4typeEPT_PT0_S4_, .Lfunc_end203-_Z33tail_segmented_warp_reduce_kernelIihLj61ELj61EENSt9enable_ifIXntsr10test_utilsE35device_test_enabled_for_warp_size_vIXT2_EEEvE4typeEPT_PT0_S4_
                                        ; -- End function
	.section	.AMDGPU.csdata,"",@progbits
; Kernel info:
; codeLenInByte = 4
; NumSgprs: 0
; NumVgprs: 0
; ScratchSize: 0
; MemoryBound: 0
; FloatMode: 240
; IeeeMode: 1
; LDSByteSize: 0 bytes/workgroup (compile time only)
; SGPRBlocks: 0
; VGPRBlocks: 0
; NumSGPRsForWavesPerEU: 1
; NumVGPRsForWavesPerEU: 1
; Occupancy: 16
; WaveLimiterHint : 0
; COMPUTE_PGM_RSRC2:SCRATCH_EN: 0
; COMPUTE_PGM_RSRC2:USER_SGPR: 15
; COMPUTE_PGM_RSRC2:TRAP_HANDLER: 0
; COMPUTE_PGM_RSRC2:TGID_X_EN: 1
; COMPUTE_PGM_RSRC2:TGID_Y_EN: 0
; COMPUTE_PGM_RSRC2:TGID_Z_EN: 0
; COMPUTE_PGM_RSRC2:TIDIG_COMP_CNT: 0
	.section	.text._Z33tail_segmented_warp_reduce_kernelIihLj1ELj37EENSt9enable_ifIXntsr10test_utilsE35device_test_enabled_for_warp_size_vIXT2_EEEvE4typeEPT_PT0_S4_,"axG",@progbits,_Z33tail_segmented_warp_reduce_kernelIihLj1ELj37EENSt9enable_ifIXntsr10test_utilsE35device_test_enabled_for_warp_size_vIXT2_EEEvE4typeEPT_PT0_S4_,comdat
	.protected	_Z33tail_segmented_warp_reduce_kernelIihLj1ELj37EENSt9enable_ifIXntsr10test_utilsE35device_test_enabled_for_warp_size_vIXT2_EEEvE4typeEPT_PT0_S4_ ; -- Begin function _Z33tail_segmented_warp_reduce_kernelIihLj1ELj37EENSt9enable_ifIXntsr10test_utilsE35device_test_enabled_for_warp_size_vIXT2_EEEvE4typeEPT_PT0_S4_
	.globl	_Z33tail_segmented_warp_reduce_kernelIihLj1ELj37EENSt9enable_ifIXntsr10test_utilsE35device_test_enabled_for_warp_size_vIXT2_EEEvE4typeEPT_PT0_S4_
	.p2align	8
	.type	_Z33tail_segmented_warp_reduce_kernelIihLj1ELj37EENSt9enable_ifIXntsr10test_utilsE35device_test_enabled_for_warp_size_vIXT2_EEEvE4typeEPT_PT0_S4_,@function
_Z33tail_segmented_warp_reduce_kernelIihLj1ELj37EENSt9enable_ifIXntsr10test_utilsE35device_test_enabled_for_warp_size_vIXT2_EEEvE4typeEPT_PT0_S4_: ; @_Z33tail_segmented_warp_reduce_kernelIihLj1ELj37EENSt9enable_ifIXntsr10test_utilsE35device_test_enabled_for_warp_size_vIXT2_EEEvE4typeEPT_PT0_S4_
; %bb.0:
	s_endpgm
	.section	.rodata,"a",@progbits
	.p2align	6, 0x0
	.amdhsa_kernel _Z33tail_segmented_warp_reduce_kernelIihLj1ELj37EENSt9enable_ifIXntsr10test_utilsE35device_test_enabled_for_warp_size_vIXT2_EEEvE4typeEPT_PT0_S4_
		.amdhsa_group_segment_fixed_size 0
		.amdhsa_private_segment_fixed_size 0
		.amdhsa_kernarg_size 24
		.amdhsa_user_sgpr_count 15
		.amdhsa_user_sgpr_dispatch_ptr 0
		.amdhsa_user_sgpr_queue_ptr 0
		.amdhsa_user_sgpr_kernarg_segment_ptr 1
		.amdhsa_user_sgpr_dispatch_id 0
		.amdhsa_user_sgpr_private_segment_size 0
		.amdhsa_wavefront_size32 1
		.amdhsa_uses_dynamic_stack 0
		.amdhsa_enable_private_segment 0
		.amdhsa_system_sgpr_workgroup_id_x 1
		.amdhsa_system_sgpr_workgroup_id_y 0
		.amdhsa_system_sgpr_workgroup_id_z 0
		.amdhsa_system_sgpr_workgroup_info 0
		.amdhsa_system_vgpr_workitem_id 0
		.amdhsa_next_free_vgpr 1
		.amdhsa_next_free_sgpr 1
		.amdhsa_reserve_vcc 0
		.amdhsa_float_round_mode_32 0
		.amdhsa_float_round_mode_16_64 0
		.amdhsa_float_denorm_mode_32 3
		.amdhsa_float_denorm_mode_16_64 3
		.amdhsa_dx10_clamp 1
		.amdhsa_ieee_mode 1
		.amdhsa_fp16_overflow 0
		.amdhsa_workgroup_processor_mode 1
		.amdhsa_memory_ordered 1
		.amdhsa_forward_progress 0
		.amdhsa_shared_vgpr_count 0
		.amdhsa_exception_fp_ieee_invalid_op 0
		.amdhsa_exception_fp_denorm_src 0
		.amdhsa_exception_fp_ieee_div_zero 0
		.amdhsa_exception_fp_ieee_overflow 0
		.amdhsa_exception_fp_ieee_underflow 0
		.amdhsa_exception_fp_ieee_inexact 0
		.amdhsa_exception_int_div_zero 0
	.end_amdhsa_kernel
	.section	.text._Z33tail_segmented_warp_reduce_kernelIihLj1ELj37EENSt9enable_ifIXntsr10test_utilsE35device_test_enabled_for_warp_size_vIXT2_EEEvE4typeEPT_PT0_S4_,"axG",@progbits,_Z33tail_segmented_warp_reduce_kernelIihLj1ELj37EENSt9enable_ifIXntsr10test_utilsE35device_test_enabled_for_warp_size_vIXT2_EEEvE4typeEPT_PT0_S4_,comdat
.Lfunc_end204:
	.size	_Z33tail_segmented_warp_reduce_kernelIihLj1ELj37EENSt9enable_ifIXntsr10test_utilsE35device_test_enabled_for_warp_size_vIXT2_EEEvE4typeEPT_PT0_S4_, .Lfunc_end204-_Z33tail_segmented_warp_reduce_kernelIihLj1ELj37EENSt9enable_ifIXntsr10test_utilsE35device_test_enabled_for_warp_size_vIXT2_EEEvE4typeEPT_PT0_S4_
                                        ; -- End function
	.section	.AMDGPU.csdata,"",@progbits
; Kernel info:
; codeLenInByte = 4
; NumSgprs: 0
; NumVgprs: 0
; ScratchSize: 0
; MemoryBound: 0
; FloatMode: 240
; IeeeMode: 1
; LDSByteSize: 0 bytes/workgroup (compile time only)
; SGPRBlocks: 0
; VGPRBlocks: 0
; NumSGPRsForWavesPerEU: 1
; NumVGPRsForWavesPerEU: 1
; Occupancy: 16
; WaveLimiterHint : 0
; COMPUTE_PGM_RSRC2:SCRATCH_EN: 0
; COMPUTE_PGM_RSRC2:USER_SGPR: 15
; COMPUTE_PGM_RSRC2:TRAP_HANDLER: 0
; COMPUTE_PGM_RSRC2:TGID_X_EN: 1
; COMPUTE_PGM_RSRC2:TGID_Y_EN: 0
; COMPUTE_PGM_RSRC2:TGID_Z_EN: 0
; COMPUTE_PGM_RSRC2:TIDIG_COMP_CNT: 0
	.section	.text._Z33tail_segmented_warp_reduce_kernelIihLj37ELj37EENSt9enable_ifIXntsr10test_utilsE35device_test_enabled_for_warp_size_vIXT2_EEEvE4typeEPT_PT0_S4_,"axG",@progbits,_Z33tail_segmented_warp_reduce_kernelIihLj37ELj37EENSt9enable_ifIXntsr10test_utilsE35device_test_enabled_for_warp_size_vIXT2_EEEvE4typeEPT_PT0_S4_,comdat
	.protected	_Z33tail_segmented_warp_reduce_kernelIihLj37ELj37EENSt9enable_ifIXntsr10test_utilsE35device_test_enabled_for_warp_size_vIXT2_EEEvE4typeEPT_PT0_S4_ ; -- Begin function _Z33tail_segmented_warp_reduce_kernelIihLj37ELj37EENSt9enable_ifIXntsr10test_utilsE35device_test_enabled_for_warp_size_vIXT2_EEEvE4typeEPT_PT0_S4_
	.globl	_Z33tail_segmented_warp_reduce_kernelIihLj37ELj37EENSt9enable_ifIXntsr10test_utilsE35device_test_enabled_for_warp_size_vIXT2_EEEvE4typeEPT_PT0_S4_
	.p2align	8
	.type	_Z33tail_segmented_warp_reduce_kernelIihLj37ELj37EENSt9enable_ifIXntsr10test_utilsE35device_test_enabled_for_warp_size_vIXT2_EEEvE4typeEPT_PT0_S4_,@function
_Z33tail_segmented_warp_reduce_kernelIihLj37ELj37EENSt9enable_ifIXntsr10test_utilsE35device_test_enabled_for_warp_size_vIXT2_EEEvE4typeEPT_PT0_S4_: ; @_Z33tail_segmented_warp_reduce_kernelIihLj37ELj37EENSt9enable_ifIXntsr10test_utilsE35device_test_enabled_for_warp_size_vIXT2_EEEvE4typeEPT_PT0_S4_
; %bb.0:
	s_endpgm
	.section	.rodata,"a",@progbits
	.p2align	6, 0x0
	.amdhsa_kernel _Z33tail_segmented_warp_reduce_kernelIihLj37ELj37EENSt9enable_ifIXntsr10test_utilsE35device_test_enabled_for_warp_size_vIXT2_EEEvE4typeEPT_PT0_S4_
		.amdhsa_group_segment_fixed_size 0
		.amdhsa_private_segment_fixed_size 0
		.amdhsa_kernarg_size 24
		.amdhsa_user_sgpr_count 15
		.amdhsa_user_sgpr_dispatch_ptr 0
		.amdhsa_user_sgpr_queue_ptr 0
		.amdhsa_user_sgpr_kernarg_segment_ptr 1
		.amdhsa_user_sgpr_dispatch_id 0
		.amdhsa_user_sgpr_private_segment_size 0
		.amdhsa_wavefront_size32 1
		.amdhsa_uses_dynamic_stack 0
		.amdhsa_enable_private_segment 0
		.amdhsa_system_sgpr_workgroup_id_x 1
		.amdhsa_system_sgpr_workgroup_id_y 0
		.amdhsa_system_sgpr_workgroup_id_z 0
		.amdhsa_system_sgpr_workgroup_info 0
		.amdhsa_system_vgpr_workitem_id 0
		.amdhsa_next_free_vgpr 1
		.amdhsa_next_free_sgpr 1
		.amdhsa_reserve_vcc 0
		.amdhsa_float_round_mode_32 0
		.amdhsa_float_round_mode_16_64 0
		.amdhsa_float_denorm_mode_32 3
		.amdhsa_float_denorm_mode_16_64 3
		.amdhsa_dx10_clamp 1
		.amdhsa_ieee_mode 1
		.amdhsa_fp16_overflow 0
		.amdhsa_workgroup_processor_mode 1
		.amdhsa_memory_ordered 1
		.amdhsa_forward_progress 0
		.amdhsa_shared_vgpr_count 0
		.amdhsa_exception_fp_ieee_invalid_op 0
		.amdhsa_exception_fp_denorm_src 0
		.amdhsa_exception_fp_ieee_div_zero 0
		.amdhsa_exception_fp_ieee_overflow 0
		.amdhsa_exception_fp_ieee_underflow 0
		.amdhsa_exception_fp_ieee_inexact 0
		.amdhsa_exception_int_div_zero 0
	.end_amdhsa_kernel
	.section	.text._Z33tail_segmented_warp_reduce_kernelIihLj37ELj37EENSt9enable_ifIXntsr10test_utilsE35device_test_enabled_for_warp_size_vIXT2_EEEvE4typeEPT_PT0_S4_,"axG",@progbits,_Z33tail_segmented_warp_reduce_kernelIihLj37ELj37EENSt9enable_ifIXntsr10test_utilsE35device_test_enabled_for_warp_size_vIXT2_EEEvE4typeEPT_PT0_S4_,comdat
.Lfunc_end205:
	.size	_Z33tail_segmented_warp_reduce_kernelIihLj37ELj37EENSt9enable_ifIXntsr10test_utilsE35device_test_enabled_for_warp_size_vIXT2_EEEvE4typeEPT_PT0_S4_, .Lfunc_end205-_Z33tail_segmented_warp_reduce_kernelIihLj37ELj37EENSt9enable_ifIXntsr10test_utilsE35device_test_enabled_for_warp_size_vIXT2_EEEvE4typeEPT_PT0_S4_
                                        ; -- End function
	.section	.AMDGPU.csdata,"",@progbits
; Kernel info:
; codeLenInByte = 4
; NumSgprs: 0
; NumVgprs: 0
; ScratchSize: 0
; MemoryBound: 0
; FloatMode: 240
; IeeeMode: 1
; LDSByteSize: 0 bytes/workgroup (compile time only)
; SGPRBlocks: 0
; VGPRBlocks: 0
; NumSGPRsForWavesPerEU: 1
; NumVGPRsForWavesPerEU: 1
; Occupancy: 16
; WaveLimiterHint : 0
; COMPUTE_PGM_RSRC2:SCRATCH_EN: 0
; COMPUTE_PGM_RSRC2:USER_SGPR: 15
; COMPUTE_PGM_RSRC2:TRAP_HANDLER: 0
; COMPUTE_PGM_RSRC2:TGID_X_EN: 1
; COMPUTE_PGM_RSRC2:TGID_Y_EN: 0
; COMPUTE_PGM_RSRC2:TGID_Z_EN: 0
; COMPUTE_PGM_RSRC2:TIDIG_COMP_CNT: 0
	.section	.text._Z33tail_segmented_warp_reduce_kernelIihLj30ELj15EENSt9enable_ifIXsr10test_utilsE35device_test_enabled_for_warp_size_vIXT2_EEEvE4typeEPT_PT0_S4_,"axG",@progbits,_Z33tail_segmented_warp_reduce_kernelIihLj30ELj15EENSt9enable_ifIXsr10test_utilsE35device_test_enabled_for_warp_size_vIXT2_EEEvE4typeEPT_PT0_S4_,comdat
	.protected	_Z33tail_segmented_warp_reduce_kernelIihLj30ELj15EENSt9enable_ifIXsr10test_utilsE35device_test_enabled_for_warp_size_vIXT2_EEEvE4typeEPT_PT0_S4_ ; -- Begin function _Z33tail_segmented_warp_reduce_kernelIihLj30ELj15EENSt9enable_ifIXsr10test_utilsE35device_test_enabled_for_warp_size_vIXT2_EEEvE4typeEPT_PT0_S4_
	.globl	_Z33tail_segmented_warp_reduce_kernelIihLj30ELj15EENSt9enable_ifIXsr10test_utilsE35device_test_enabled_for_warp_size_vIXT2_EEEvE4typeEPT_PT0_S4_
	.p2align	8
	.type	_Z33tail_segmented_warp_reduce_kernelIihLj30ELj15EENSt9enable_ifIXsr10test_utilsE35device_test_enabled_for_warp_size_vIXT2_EEEvE4typeEPT_PT0_S4_,@function
_Z33tail_segmented_warp_reduce_kernelIihLj30ELj15EENSt9enable_ifIXsr10test_utilsE35device_test_enabled_for_warp_size_vIXT2_EEEvE4typeEPT_PT0_S4_: ; @_Z33tail_segmented_warp_reduce_kernelIihLj30ELj15EENSt9enable_ifIXsr10test_utilsE35device_test_enabled_for_warp_size_vIXT2_EEEvE4typeEPT_PT0_S4_
; %bb.0:
	s_clause 0x1
	s_load_b32 s2, s[0:1], 0x24
	s_load_b128 s[4:7], s[0:1], 0x0
	s_waitcnt lgkmcnt(0)
	s_and_b32 s2, s2, 0xffff
	s_delay_alu instid0(SALU_CYCLE_1) | instskip(SKIP_3) | instid1(VALU_DEP_1)
	v_mad_u64_u32 v[1:2], null, s15, s2, v[0:1]
	v_mov_b32_e32 v2, 0
	v_mul_u32_u24_e32 v0, 0x1112, v0
	s_mov_b32 s2, exec_lo
	v_lshrrev_b32_e32 v0, 16, v0
	global_load_u8 v5, v1, s[6:7]
	v_lshlrev_b64 v[1:2], 2, v[1:2]
	s_delay_alu instid0(VALU_DEP_1) | instskip(NEXT) | instid1(VALU_DEP_2)
	v_add_co_u32 v3, vcc_lo, s4, v1
	v_add_co_ci_u32_e32 v4, vcc_lo, s5, v2, vcc_lo
	global_load_b32 v3, v[3:4], off
	v_mbcnt_lo_u32_b32 v4, -1, 0
	s_delay_alu instid0(VALU_DEP_1) | instskip(NEXT) | instid1(VALU_DEP_1)
	v_mul_hi_u32 v6, 0x11111112, v4
	v_mul_u32_u24_e32 v6, 15, v6
	s_waitcnt vmcnt(1)
	v_cmp_ne_u16_e32 vcc_lo, 0, v5
	v_lshlrev_b32_e64 v5, v4, -1
	s_delay_alu instid0(VALU_DEP_3) | instskip(NEXT) | instid1(VALU_DEP_2)
	v_sub_nc_u32_e32 v4, v4, v6
	v_and_b32_e32 v5, vcc_lo, v5
	s_delay_alu instid0(VALU_DEP_1) | instskip(NEXT) | instid1(VALU_DEP_3)
	v_lshrrev_b32_e32 v5, v6, v5
	v_lshlrev_b32_e32 v6, 2, v4
	s_delay_alu instid0(VALU_DEP_2) | instskip(NEXT) | instid1(VALU_DEP_2)
	v_or_b32_e32 v5, 0x4000, v5
	v_mad_u32_u24 v0, v0, 60, v6
	s_delay_alu instid0(VALU_DEP_2)
	v_ctz_i32_b32_e32 v5, v5
	s_waitcnt vmcnt(0)
	ds_store_b32 v0, v3
	; wave barrier
	v_cmpx_lt_u32_e64 v4, v5
	s_cbranch_execz .LBB206_2
; %bb.1:
	ds_load_b32 v6, v0 offset:4
	s_waitcnt lgkmcnt(0)
	v_add_nc_u32_e32 v3, v6, v3
.LBB206_2:
	s_or_b32 exec_lo, exec_lo, s2
	s_load_b64 s[0:1], s[0:1], 0x10
	v_add_nc_u32_e32 v6, 2, v4
	s_mov_b32 s2, exec_lo
	; wave barrier
	ds_store_b32 v0, v3
	; wave barrier
	v_cmpx_le_u32_e64 v6, v5
	s_cbranch_execz .LBB206_4
; %bb.3:
	ds_load_b32 v6, v0 offset:8
	s_waitcnt lgkmcnt(0)
	v_add_nc_u32_e32 v3, v6, v3
.LBB206_4:
	s_or_b32 exec_lo, exec_lo, s2
	v_add_nc_u32_e32 v6, 4, v4
	s_mov_b32 s2, exec_lo
	; wave barrier
	ds_store_b32 v0, v3
	; wave barrier
	v_cmpx_le_u32_e64 v6, v5
	s_cbranch_execz .LBB206_6
; %bb.5:
	ds_load_b32 v6, v0 offset:16
	s_waitcnt lgkmcnt(0)
	v_add_nc_u32_e32 v3, v6, v3
.LBB206_6:
	s_or_b32 exec_lo, exec_lo, s2
	;; [unrolled: 13-line block ×3, first 2 shown]
	s_waitcnt lgkmcnt(0)
	v_add_co_u32 v0, vcc_lo, s0, v1
	v_add_co_ci_u32_e32 v1, vcc_lo, s1, v2, vcc_lo
	; wave barrier
	global_store_b32 v[0:1], v3, off
	s_nop 0
	s_sendmsg sendmsg(MSG_DEALLOC_VGPRS)
	s_endpgm
	.section	.rodata,"a",@progbits
	.p2align	6, 0x0
	.amdhsa_kernel _Z33tail_segmented_warp_reduce_kernelIihLj30ELj15EENSt9enable_ifIXsr10test_utilsE35device_test_enabled_for_warp_size_vIXT2_EEEvE4typeEPT_PT0_S4_
		.amdhsa_group_segment_fixed_size 120
		.amdhsa_private_segment_fixed_size 0
		.amdhsa_kernarg_size 280
		.amdhsa_user_sgpr_count 15
		.amdhsa_user_sgpr_dispatch_ptr 0
		.amdhsa_user_sgpr_queue_ptr 0
		.amdhsa_user_sgpr_kernarg_segment_ptr 1
		.amdhsa_user_sgpr_dispatch_id 0
		.amdhsa_user_sgpr_private_segment_size 0
		.amdhsa_wavefront_size32 1
		.amdhsa_uses_dynamic_stack 0
		.amdhsa_enable_private_segment 0
		.amdhsa_system_sgpr_workgroup_id_x 1
		.amdhsa_system_sgpr_workgroup_id_y 0
		.amdhsa_system_sgpr_workgroup_id_z 0
		.amdhsa_system_sgpr_workgroup_info 0
		.amdhsa_system_vgpr_workitem_id 0
		.amdhsa_next_free_vgpr 7
		.amdhsa_next_free_sgpr 16
		.amdhsa_reserve_vcc 1
		.amdhsa_float_round_mode_32 0
		.amdhsa_float_round_mode_16_64 0
		.amdhsa_float_denorm_mode_32 3
		.amdhsa_float_denorm_mode_16_64 3
		.amdhsa_dx10_clamp 1
		.amdhsa_ieee_mode 1
		.amdhsa_fp16_overflow 0
		.amdhsa_workgroup_processor_mode 1
		.amdhsa_memory_ordered 1
		.amdhsa_forward_progress 0
		.amdhsa_shared_vgpr_count 0
		.amdhsa_exception_fp_ieee_invalid_op 0
		.amdhsa_exception_fp_denorm_src 0
		.amdhsa_exception_fp_ieee_div_zero 0
		.amdhsa_exception_fp_ieee_overflow 0
		.amdhsa_exception_fp_ieee_underflow 0
		.amdhsa_exception_fp_ieee_inexact 0
		.amdhsa_exception_int_div_zero 0
	.end_amdhsa_kernel
	.section	.text._Z33tail_segmented_warp_reduce_kernelIihLj30ELj15EENSt9enable_ifIXsr10test_utilsE35device_test_enabled_for_warp_size_vIXT2_EEEvE4typeEPT_PT0_S4_,"axG",@progbits,_Z33tail_segmented_warp_reduce_kernelIihLj30ELj15EENSt9enable_ifIXsr10test_utilsE35device_test_enabled_for_warp_size_vIXT2_EEEvE4typeEPT_PT0_S4_,comdat
.Lfunc_end206:
	.size	_Z33tail_segmented_warp_reduce_kernelIihLj30ELj15EENSt9enable_ifIXsr10test_utilsE35device_test_enabled_for_warp_size_vIXT2_EEEvE4typeEPT_PT0_S4_, .Lfunc_end206-_Z33tail_segmented_warp_reduce_kernelIihLj30ELj15EENSt9enable_ifIXsr10test_utilsE35device_test_enabled_for_warp_size_vIXT2_EEEvE4typeEPT_PT0_S4_
                                        ; -- End function
	.section	.AMDGPU.csdata,"",@progbits
; Kernel info:
; codeLenInByte = 432
; NumSgprs: 18
; NumVgprs: 7
; ScratchSize: 0
; MemoryBound: 0
; FloatMode: 240
; IeeeMode: 1
; LDSByteSize: 120 bytes/workgroup (compile time only)
; SGPRBlocks: 2
; VGPRBlocks: 0
; NumSGPRsForWavesPerEU: 18
; NumVGPRsForWavesPerEU: 7
; Occupancy: 16
; WaveLimiterHint : 0
; COMPUTE_PGM_RSRC2:SCRATCH_EN: 0
; COMPUTE_PGM_RSRC2:USER_SGPR: 15
; COMPUTE_PGM_RSRC2:TRAP_HANDLER: 0
; COMPUTE_PGM_RSRC2:TGID_X_EN: 1
; COMPUTE_PGM_RSRC2:TGID_Y_EN: 0
; COMPUTE_PGM_RSRC2:TGID_Z_EN: 0
; COMPUTE_PGM_RSRC2:TIDIG_COMP_CNT: 0
	.section	.text._Z33tail_segmented_warp_reduce_kernelIihLj60ELj15EENSt9enable_ifIXsr10test_utilsE35device_test_enabled_for_warp_size_vIXT2_EEEvE4typeEPT_PT0_S4_,"axG",@progbits,_Z33tail_segmented_warp_reduce_kernelIihLj60ELj15EENSt9enable_ifIXsr10test_utilsE35device_test_enabled_for_warp_size_vIXT2_EEEvE4typeEPT_PT0_S4_,comdat
	.protected	_Z33tail_segmented_warp_reduce_kernelIihLj60ELj15EENSt9enable_ifIXsr10test_utilsE35device_test_enabled_for_warp_size_vIXT2_EEEvE4typeEPT_PT0_S4_ ; -- Begin function _Z33tail_segmented_warp_reduce_kernelIihLj60ELj15EENSt9enable_ifIXsr10test_utilsE35device_test_enabled_for_warp_size_vIXT2_EEEvE4typeEPT_PT0_S4_
	.globl	_Z33tail_segmented_warp_reduce_kernelIihLj60ELj15EENSt9enable_ifIXsr10test_utilsE35device_test_enabled_for_warp_size_vIXT2_EEEvE4typeEPT_PT0_S4_
	.p2align	8
	.type	_Z33tail_segmented_warp_reduce_kernelIihLj60ELj15EENSt9enable_ifIXsr10test_utilsE35device_test_enabled_for_warp_size_vIXT2_EEEvE4typeEPT_PT0_S4_,@function
_Z33tail_segmented_warp_reduce_kernelIihLj60ELj15EENSt9enable_ifIXsr10test_utilsE35device_test_enabled_for_warp_size_vIXT2_EEEvE4typeEPT_PT0_S4_: ; @_Z33tail_segmented_warp_reduce_kernelIihLj60ELj15EENSt9enable_ifIXsr10test_utilsE35device_test_enabled_for_warp_size_vIXT2_EEEvE4typeEPT_PT0_S4_
; %bb.0:
	s_clause 0x1
	s_load_b32 s2, s[0:1], 0x24
	s_load_b128 s[4:7], s[0:1], 0x0
	s_waitcnt lgkmcnt(0)
	s_and_b32 s2, s2, 0xffff
	s_delay_alu instid0(SALU_CYCLE_1) | instskip(SKIP_3) | instid1(VALU_DEP_1)
	v_mad_u64_u32 v[1:2], null, s15, s2, v[0:1]
	v_mov_b32_e32 v2, 0
	v_mul_u32_u24_e32 v0, 0x1112, v0
	s_mov_b32 s2, exec_lo
	v_lshrrev_b32_e32 v0, 16, v0
	global_load_u8 v5, v1, s[6:7]
	v_lshlrev_b64 v[1:2], 2, v[1:2]
	s_delay_alu instid0(VALU_DEP_1) | instskip(NEXT) | instid1(VALU_DEP_2)
	v_add_co_u32 v3, vcc_lo, s4, v1
	v_add_co_ci_u32_e32 v4, vcc_lo, s5, v2, vcc_lo
	global_load_b32 v3, v[3:4], off
	v_mbcnt_lo_u32_b32 v4, -1, 0
	s_delay_alu instid0(VALU_DEP_1) | instskip(NEXT) | instid1(VALU_DEP_1)
	v_mul_hi_u32 v6, 0x11111112, v4
	v_mul_u32_u24_e32 v6, 15, v6
	s_waitcnt vmcnt(1)
	v_cmp_ne_u16_e32 vcc_lo, 0, v5
	v_lshlrev_b32_e64 v5, v4, -1
	s_delay_alu instid0(VALU_DEP_3) | instskip(NEXT) | instid1(VALU_DEP_2)
	v_sub_nc_u32_e32 v4, v4, v6
	v_and_b32_e32 v5, vcc_lo, v5
	s_delay_alu instid0(VALU_DEP_1) | instskip(NEXT) | instid1(VALU_DEP_3)
	v_lshrrev_b32_e32 v5, v6, v5
	v_lshlrev_b32_e32 v6, 2, v4
	s_delay_alu instid0(VALU_DEP_2) | instskip(NEXT) | instid1(VALU_DEP_2)
	v_or_b32_e32 v5, 0x4000, v5
	v_mad_u32_u24 v0, v0, 60, v6
	s_delay_alu instid0(VALU_DEP_2)
	v_ctz_i32_b32_e32 v5, v5
	s_waitcnt vmcnt(0)
	ds_store_b32 v0, v3
	; wave barrier
	v_cmpx_lt_u32_e64 v4, v5
	s_cbranch_execz .LBB207_2
; %bb.1:
	ds_load_b32 v6, v0 offset:4
	s_waitcnt lgkmcnt(0)
	v_add_nc_u32_e32 v3, v6, v3
.LBB207_2:
	s_or_b32 exec_lo, exec_lo, s2
	s_load_b64 s[0:1], s[0:1], 0x10
	v_add_nc_u32_e32 v6, 2, v4
	s_mov_b32 s2, exec_lo
	; wave barrier
	ds_store_b32 v0, v3
	; wave barrier
	v_cmpx_le_u32_e64 v6, v5
	s_cbranch_execz .LBB207_4
; %bb.3:
	ds_load_b32 v6, v0 offset:8
	s_waitcnt lgkmcnt(0)
	v_add_nc_u32_e32 v3, v6, v3
.LBB207_4:
	s_or_b32 exec_lo, exec_lo, s2
	v_add_nc_u32_e32 v6, 4, v4
	s_mov_b32 s2, exec_lo
	; wave barrier
	ds_store_b32 v0, v3
	; wave barrier
	v_cmpx_le_u32_e64 v6, v5
	s_cbranch_execz .LBB207_6
; %bb.5:
	ds_load_b32 v6, v0 offset:16
	s_waitcnt lgkmcnt(0)
	v_add_nc_u32_e32 v3, v6, v3
.LBB207_6:
	s_or_b32 exec_lo, exec_lo, s2
	;; [unrolled: 13-line block ×3, first 2 shown]
	s_waitcnt lgkmcnt(0)
	v_add_co_u32 v0, vcc_lo, s0, v1
	v_add_co_ci_u32_e32 v1, vcc_lo, s1, v2, vcc_lo
	; wave barrier
	global_store_b32 v[0:1], v3, off
	s_nop 0
	s_sendmsg sendmsg(MSG_DEALLOC_VGPRS)
	s_endpgm
	.section	.rodata,"a",@progbits
	.p2align	6, 0x0
	.amdhsa_kernel _Z33tail_segmented_warp_reduce_kernelIihLj60ELj15EENSt9enable_ifIXsr10test_utilsE35device_test_enabled_for_warp_size_vIXT2_EEEvE4typeEPT_PT0_S4_
		.amdhsa_group_segment_fixed_size 240
		.amdhsa_private_segment_fixed_size 0
		.amdhsa_kernarg_size 280
		.amdhsa_user_sgpr_count 15
		.amdhsa_user_sgpr_dispatch_ptr 0
		.amdhsa_user_sgpr_queue_ptr 0
		.amdhsa_user_sgpr_kernarg_segment_ptr 1
		.amdhsa_user_sgpr_dispatch_id 0
		.amdhsa_user_sgpr_private_segment_size 0
		.amdhsa_wavefront_size32 1
		.amdhsa_uses_dynamic_stack 0
		.amdhsa_enable_private_segment 0
		.amdhsa_system_sgpr_workgroup_id_x 1
		.amdhsa_system_sgpr_workgroup_id_y 0
		.amdhsa_system_sgpr_workgroup_id_z 0
		.amdhsa_system_sgpr_workgroup_info 0
		.amdhsa_system_vgpr_workitem_id 0
		.amdhsa_next_free_vgpr 7
		.amdhsa_next_free_sgpr 16
		.amdhsa_reserve_vcc 1
		.amdhsa_float_round_mode_32 0
		.amdhsa_float_round_mode_16_64 0
		.amdhsa_float_denorm_mode_32 3
		.amdhsa_float_denorm_mode_16_64 3
		.amdhsa_dx10_clamp 1
		.amdhsa_ieee_mode 1
		.amdhsa_fp16_overflow 0
		.amdhsa_workgroup_processor_mode 1
		.amdhsa_memory_ordered 1
		.amdhsa_forward_progress 0
		.amdhsa_shared_vgpr_count 0
		.amdhsa_exception_fp_ieee_invalid_op 0
		.amdhsa_exception_fp_denorm_src 0
		.amdhsa_exception_fp_ieee_div_zero 0
		.amdhsa_exception_fp_ieee_overflow 0
		.amdhsa_exception_fp_ieee_underflow 0
		.amdhsa_exception_fp_ieee_inexact 0
		.amdhsa_exception_int_div_zero 0
	.end_amdhsa_kernel
	.section	.text._Z33tail_segmented_warp_reduce_kernelIihLj60ELj15EENSt9enable_ifIXsr10test_utilsE35device_test_enabled_for_warp_size_vIXT2_EEEvE4typeEPT_PT0_S4_,"axG",@progbits,_Z33tail_segmented_warp_reduce_kernelIihLj60ELj15EENSt9enable_ifIXsr10test_utilsE35device_test_enabled_for_warp_size_vIXT2_EEEvE4typeEPT_PT0_S4_,comdat
.Lfunc_end207:
	.size	_Z33tail_segmented_warp_reduce_kernelIihLj60ELj15EENSt9enable_ifIXsr10test_utilsE35device_test_enabled_for_warp_size_vIXT2_EEEvE4typeEPT_PT0_S4_, .Lfunc_end207-_Z33tail_segmented_warp_reduce_kernelIihLj60ELj15EENSt9enable_ifIXsr10test_utilsE35device_test_enabled_for_warp_size_vIXT2_EEEvE4typeEPT_PT0_S4_
                                        ; -- End function
	.section	.AMDGPU.csdata,"",@progbits
; Kernel info:
; codeLenInByte = 432
; NumSgprs: 18
; NumVgprs: 7
; ScratchSize: 0
; MemoryBound: 0
; FloatMode: 240
; IeeeMode: 1
; LDSByteSize: 240 bytes/workgroup (compile time only)
; SGPRBlocks: 2
; VGPRBlocks: 0
; NumSGPRsForWavesPerEU: 18
; NumVGPRsForWavesPerEU: 7
; Occupancy: 16
; WaveLimiterHint : 0
; COMPUTE_PGM_RSRC2:SCRATCH_EN: 0
; COMPUTE_PGM_RSRC2:USER_SGPR: 15
; COMPUTE_PGM_RSRC2:TRAP_HANDLER: 0
; COMPUTE_PGM_RSRC2:TGID_X_EN: 1
; COMPUTE_PGM_RSRC2:TGID_Y_EN: 0
; COMPUTE_PGM_RSRC2:TGID_Z_EN: 0
; COMPUTE_PGM_RSRC2:TIDIG_COMP_CNT: 0
	.section	.text._Z33tail_segmented_warp_reduce_kernelIihLj28ELj7EENSt9enable_ifIXsr10test_utilsE35device_test_enabled_for_warp_size_vIXT2_EEEvE4typeEPT_PT0_S4_,"axG",@progbits,_Z33tail_segmented_warp_reduce_kernelIihLj28ELj7EENSt9enable_ifIXsr10test_utilsE35device_test_enabled_for_warp_size_vIXT2_EEEvE4typeEPT_PT0_S4_,comdat
	.protected	_Z33tail_segmented_warp_reduce_kernelIihLj28ELj7EENSt9enable_ifIXsr10test_utilsE35device_test_enabled_for_warp_size_vIXT2_EEEvE4typeEPT_PT0_S4_ ; -- Begin function _Z33tail_segmented_warp_reduce_kernelIihLj28ELj7EENSt9enable_ifIXsr10test_utilsE35device_test_enabled_for_warp_size_vIXT2_EEEvE4typeEPT_PT0_S4_
	.globl	_Z33tail_segmented_warp_reduce_kernelIihLj28ELj7EENSt9enable_ifIXsr10test_utilsE35device_test_enabled_for_warp_size_vIXT2_EEEvE4typeEPT_PT0_S4_
	.p2align	8
	.type	_Z33tail_segmented_warp_reduce_kernelIihLj28ELj7EENSt9enable_ifIXsr10test_utilsE35device_test_enabled_for_warp_size_vIXT2_EEEvE4typeEPT_PT0_S4_,@function
_Z33tail_segmented_warp_reduce_kernelIihLj28ELj7EENSt9enable_ifIXsr10test_utilsE35device_test_enabled_for_warp_size_vIXT2_EEEvE4typeEPT_PT0_S4_: ; @_Z33tail_segmented_warp_reduce_kernelIihLj28ELj7EENSt9enable_ifIXsr10test_utilsE35device_test_enabled_for_warp_size_vIXT2_EEEvE4typeEPT_PT0_S4_
; %bb.0:
	s_clause 0x2
	s_load_b32 s2, s[0:1], 0x24
	s_load_b128 s[4:7], s[0:1], 0x0
	s_load_b64 s[0:1], s[0:1], 0x10
	s_waitcnt lgkmcnt(0)
	s_and_b32 s2, s2, 0xffff
	s_delay_alu instid0(SALU_CYCLE_1) | instskip(SKIP_3) | instid1(VALU_DEP_1)
	v_mad_u64_u32 v[1:2], null, s15, s2, v[0:1]
	v_mov_b32_e32 v2, 0
	v_mul_u32_u24_e32 v0, 0x2493, v0
	s_mov_b32 s2, exec_lo
	v_lshrrev_b32_e32 v0, 16, v0
	global_load_u8 v5, v1, s[6:7]
	v_lshlrev_b64 v[1:2], 2, v[1:2]
	s_delay_alu instid0(VALU_DEP_1) | instskip(NEXT) | instid1(VALU_DEP_2)
	v_add_co_u32 v3, vcc_lo, s4, v1
	v_add_co_ci_u32_e32 v4, vcc_lo, s5, v2, vcc_lo
	global_load_b32 v3, v[3:4], off
	v_mbcnt_lo_u32_b32 v4, -1, 0
	s_delay_alu instid0(VALU_DEP_1) | instskip(NEXT) | instid1(VALU_DEP_1)
	v_mul_hi_u32 v6, 0x24924925, v4
	v_mul_u32_u24_e32 v6, 7, v6
	s_waitcnt vmcnt(1)
	v_cmp_ne_u16_e32 vcc_lo, 0, v5
	v_lshlrev_b32_e64 v5, v4, -1
	s_delay_alu instid0(VALU_DEP_3) | instskip(NEXT) | instid1(VALU_DEP_2)
	v_sub_nc_u32_e32 v4, v4, v6
	v_and_b32_e32 v5, vcc_lo, v5
	s_delay_alu instid0(VALU_DEP_1) | instskip(NEXT) | instid1(VALU_DEP_3)
	v_lshrrev_b32_e32 v5, v6, v5
	v_lshlrev_b32_e32 v6, 2, v4
	s_delay_alu instid0(VALU_DEP_2) | instskip(NEXT) | instid1(VALU_DEP_2)
	v_or_b32_e32 v5, 64, v5
	v_mad_u32_u24 v0, v0, 28, v6
	s_delay_alu instid0(VALU_DEP_2)
	v_ctz_i32_b32_e32 v5, v5
	s_waitcnt vmcnt(0)
	ds_store_b32 v0, v3
	; wave barrier
	v_cmpx_lt_u32_e64 v4, v5
	s_cbranch_execz .LBB208_2
; %bb.1:
	ds_load_b32 v6, v0 offset:4
	s_waitcnt lgkmcnt(0)
	v_add_nc_u32_e32 v3, v6, v3
.LBB208_2:
	s_or_b32 exec_lo, exec_lo, s2
	v_add_nc_u32_e32 v6, 2, v4
	s_mov_b32 s2, exec_lo
	; wave barrier
	ds_store_b32 v0, v3
	; wave barrier
	v_cmpx_le_u32_e64 v6, v5
	s_cbranch_execz .LBB208_4
; %bb.3:
	ds_load_b32 v6, v0 offset:8
	s_waitcnt lgkmcnt(0)
	v_add_nc_u32_e32 v3, v6, v3
.LBB208_4:
	s_or_b32 exec_lo, exec_lo, s2
	v_add_nc_u32_e32 v4, 4, v4
	s_mov_b32 s2, exec_lo
	; wave barrier
	ds_store_b32 v0, v3
	; wave barrier
	v_cmpx_le_u32_e64 v4, v5
	s_cbranch_execz .LBB208_6
; %bb.5:
	ds_load_b32 v0, v0 offset:16
	s_waitcnt lgkmcnt(0)
	v_add_nc_u32_e32 v3, v0, v3
.LBB208_6:
	s_or_b32 exec_lo, exec_lo, s2
	v_add_co_u32 v0, vcc_lo, s0, v1
	v_add_co_ci_u32_e32 v1, vcc_lo, s1, v2, vcc_lo
	; wave barrier
	global_store_b32 v[0:1], v3, off
	s_nop 0
	s_sendmsg sendmsg(MSG_DEALLOC_VGPRS)
	s_endpgm
	.section	.rodata,"a",@progbits
	.p2align	6, 0x0
	.amdhsa_kernel _Z33tail_segmented_warp_reduce_kernelIihLj28ELj7EENSt9enable_ifIXsr10test_utilsE35device_test_enabled_for_warp_size_vIXT2_EEEvE4typeEPT_PT0_S4_
		.amdhsa_group_segment_fixed_size 112
		.amdhsa_private_segment_fixed_size 0
		.amdhsa_kernarg_size 280
		.amdhsa_user_sgpr_count 15
		.amdhsa_user_sgpr_dispatch_ptr 0
		.amdhsa_user_sgpr_queue_ptr 0
		.amdhsa_user_sgpr_kernarg_segment_ptr 1
		.amdhsa_user_sgpr_dispatch_id 0
		.amdhsa_user_sgpr_private_segment_size 0
		.amdhsa_wavefront_size32 1
		.amdhsa_uses_dynamic_stack 0
		.amdhsa_enable_private_segment 0
		.amdhsa_system_sgpr_workgroup_id_x 1
		.amdhsa_system_sgpr_workgroup_id_y 0
		.amdhsa_system_sgpr_workgroup_id_z 0
		.amdhsa_system_sgpr_workgroup_info 0
		.amdhsa_system_vgpr_workitem_id 0
		.amdhsa_next_free_vgpr 7
		.amdhsa_next_free_sgpr 16
		.amdhsa_reserve_vcc 1
		.amdhsa_float_round_mode_32 0
		.amdhsa_float_round_mode_16_64 0
		.amdhsa_float_denorm_mode_32 3
		.amdhsa_float_denorm_mode_16_64 3
		.amdhsa_dx10_clamp 1
		.amdhsa_ieee_mode 1
		.amdhsa_fp16_overflow 0
		.amdhsa_workgroup_processor_mode 1
		.amdhsa_memory_ordered 1
		.amdhsa_forward_progress 0
		.amdhsa_shared_vgpr_count 0
		.amdhsa_exception_fp_ieee_invalid_op 0
		.amdhsa_exception_fp_denorm_src 0
		.amdhsa_exception_fp_ieee_div_zero 0
		.amdhsa_exception_fp_ieee_overflow 0
		.amdhsa_exception_fp_ieee_underflow 0
		.amdhsa_exception_fp_ieee_inexact 0
		.amdhsa_exception_int_div_zero 0
	.end_amdhsa_kernel
	.section	.text._Z33tail_segmented_warp_reduce_kernelIihLj28ELj7EENSt9enable_ifIXsr10test_utilsE35device_test_enabled_for_warp_size_vIXT2_EEEvE4typeEPT_PT0_S4_,"axG",@progbits,_Z33tail_segmented_warp_reduce_kernelIihLj28ELj7EENSt9enable_ifIXsr10test_utilsE35device_test_enabled_for_warp_size_vIXT2_EEEvE4typeEPT_PT0_S4_,comdat
.Lfunc_end208:
	.size	_Z33tail_segmented_warp_reduce_kernelIihLj28ELj7EENSt9enable_ifIXsr10test_utilsE35device_test_enabled_for_warp_size_vIXT2_EEEvE4typeEPT_PT0_S4_, .Lfunc_end208-_Z33tail_segmented_warp_reduce_kernelIihLj28ELj7EENSt9enable_ifIXsr10test_utilsE35device_test_enabled_for_warp_size_vIXT2_EEEvE4typeEPT_PT0_S4_
                                        ; -- End function
	.section	.AMDGPU.csdata,"",@progbits
; Kernel info:
; codeLenInByte = 376
; NumSgprs: 18
; NumVgprs: 7
; ScratchSize: 0
; MemoryBound: 0
; FloatMode: 240
; IeeeMode: 1
; LDSByteSize: 112 bytes/workgroup (compile time only)
; SGPRBlocks: 2
; VGPRBlocks: 0
; NumSGPRsForWavesPerEU: 18
; NumVGPRsForWavesPerEU: 7
; Occupancy: 16
; WaveLimiterHint : 0
; COMPUTE_PGM_RSRC2:SCRATCH_EN: 0
; COMPUTE_PGM_RSRC2:USER_SGPR: 15
; COMPUTE_PGM_RSRC2:TRAP_HANDLER: 0
; COMPUTE_PGM_RSRC2:TGID_X_EN: 1
; COMPUTE_PGM_RSRC2:TGID_Y_EN: 0
; COMPUTE_PGM_RSRC2:TGID_Z_EN: 0
; COMPUTE_PGM_RSRC2:TIDIG_COMP_CNT: 0
	.section	.text._Z33tail_segmented_warp_reduce_kernelIihLj63ELj7EENSt9enable_ifIXsr10test_utilsE35device_test_enabled_for_warp_size_vIXT2_EEEvE4typeEPT_PT0_S4_,"axG",@progbits,_Z33tail_segmented_warp_reduce_kernelIihLj63ELj7EENSt9enable_ifIXsr10test_utilsE35device_test_enabled_for_warp_size_vIXT2_EEEvE4typeEPT_PT0_S4_,comdat
	.protected	_Z33tail_segmented_warp_reduce_kernelIihLj63ELj7EENSt9enable_ifIXsr10test_utilsE35device_test_enabled_for_warp_size_vIXT2_EEEvE4typeEPT_PT0_S4_ ; -- Begin function _Z33tail_segmented_warp_reduce_kernelIihLj63ELj7EENSt9enable_ifIXsr10test_utilsE35device_test_enabled_for_warp_size_vIXT2_EEEvE4typeEPT_PT0_S4_
	.globl	_Z33tail_segmented_warp_reduce_kernelIihLj63ELj7EENSt9enable_ifIXsr10test_utilsE35device_test_enabled_for_warp_size_vIXT2_EEEvE4typeEPT_PT0_S4_
	.p2align	8
	.type	_Z33tail_segmented_warp_reduce_kernelIihLj63ELj7EENSt9enable_ifIXsr10test_utilsE35device_test_enabled_for_warp_size_vIXT2_EEEvE4typeEPT_PT0_S4_,@function
_Z33tail_segmented_warp_reduce_kernelIihLj63ELj7EENSt9enable_ifIXsr10test_utilsE35device_test_enabled_for_warp_size_vIXT2_EEEvE4typeEPT_PT0_S4_: ; @_Z33tail_segmented_warp_reduce_kernelIihLj63ELj7EENSt9enable_ifIXsr10test_utilsE35device_test_enabled_for_warp_size_vIXT2_EEEvE4typeEPT_PT0_S4_
; %bb.0:
	s_clause 0x2
	s_load_b32 s2, s[0:1], 0x24
	s_load_b128 s[4:7], s[0:1], 0x0
	s_load_b64 s[0:1], s[0:1], 0x10
	s_waitcnt lgkmcnt(0)
	s_and_b32 s2, s2, 0xffff
	s_delay_alu instid0(SALU_CYCLE_1) | instskip(SKIP_3) | instid1(VALU_DEP_1)
	v_mad_u64_u32 v[1:2], null, s15, s2, v[0:1]
	v_mov_b32_e32 v2, 0
	v_mul_u32_u24_e32 v0, 0x2493, v0
	s_mov_b32 s2, exec_lo
	v_lshrrev_b32_e32 v0, 16, v0
	global_load_u8 v5, v1, s[6:7]
	v_lshlrev_b64 v[1:2], 2, v[1:2]
	s_delay_alu instid0(VALU_DEP_1) | instskip(NEXT) | instid1(VALU_DEP_2)
	v_add_co_u32 v3, vcc_lo, s4, v1
	v_add_co_ci_u32_e32 v4, vcc_lo, s5, v2, vcc_lo
	global_load_b32 v3, v[3:4], off
	v_mbcnt_lo_u32_b32 v4, -1, 0
	s_delay_alu instid0(VALU_DEP_1) | instskip(NEXT) | instid1(VALU_DEP_1)
	v_mul_hi_u32 v6, 0x24924925, v4
	v_mul_u32_u24_e32 v6, 7, v6
	s_waitcnt vmcnt(1)
	v_cmp_ne_u16_e32 vcc_lo, 0, v5
	v_lshlrev_b32_e64 v5, v4, -1
	s_delay_alu instid0(VALU_DEP_3) | instskip(NEXT) | instid1(VALU_DEP_2)
	v_sub_nc_u32_e32 v4, v4, v6
	v_and_b32_e32 v5, vcc_lo, v5
	s_delay_alu instid0(VALU_DEP_1) | instskip(NEXT) | instid1(VALU_DEP_3)
	v_lshrrev_b32_e32 v5, v6, v5
	v_lshlrev_b32_e32 v6, 2, v4
	s_delay_alu instid0(VALU_DEP_2) | instskip(NEXT) | instid1(VALU_DEP_2)
	v_or_b32_e32 v5, 64, v5
	v_mad_u32_u24 v0, v0, 28, v6
	s_delay_alu instid0(VALU_DEP_2)
	v_ctz_i32_b32_e32 v5, v5
	s_waitcnt vmcnt(0)
	ds_store_b32 v0, v3
	; wave barrier
	v_cmpx_lt_u32_e64 v4, v5
	s_cbranch_execz .LBB209_2
; %bb.1:
	ds_load_b32 v6, v0 offset:4
	s_waitcnt lgkmcnt(0)
	v_add_nc_u32_e32 v3, v6, v3
.LBB209_2:
	s_or_b32 exec_lo, exec_lo, s2
	v_add_nc_u32_e32 v6, 2, v4
	s_mov_b32 s2, exec_lo
	; wave barrier
	ds_store_b32 v0, v3
	; wave barrier
	v_cmpx_le_u32_e64 v6, v5
	s_cbranch_execz .LBB209_4
; %bb.3:
	ds_load_b32 v6, v0 offset:8
	s_waitcnt lgkmcnt(0)
	v_add_nc_u32_e32 v3, v6, v3
.LBB209_4:
	s_or_b32 exec_lo, exec_lo, s2
	v_add_nc_u32_e32 v4, 4, v4
	s_mov_b32 s2, exec_lo
	; wave barrier
	ds_store_b32 v0, v3
	; wave barrier
	v_cmpx_le_u32_e64 v4, v5
	s_cbranch_execz .LBB209_6
; %bb.5:
	ds_load_b32 v0, v0 offset:16
	s_waitcnt lgkmcnt(0)
	v_add_nc_u32_e32 v3, v0, v3
.LBB209_6:
	s_or_b32 exec_lo, exec_lo, s2
	v_add_co_u32 v0, vcc_lo, s0, v1
	v_add_co_ci_u32_e32 v1, vcc_lo, s1, v2, vcc_lo
	; wave barrier
	global_store_b32 v[0:1], v3, off
	s_nop 0
	s_sendmsg sendmsg(MSG_DEALLOC_VGPRS)
	s_endpgm
	.section	.rodata,"a",@progbits
	.p2align	6, 0x0
	.amdhsa_kernel _Z33tail_segmented_warp_reduce_kernelIihLj63ELj7EENSt9enable_ifIXsr10test_utilsE35device_test_enabled_for_warp_size_vIXT2_EEEvE4typeEPT_PT0_S4_
		.amdhsa_group_segment_fixed_size 252
		.amdhsa_private_segment_fixed_size 0
		.amdhsa_kernarg_size 280
		.amdhsa_user_sgpr_count 15
		.amdhsa_user_sgpr_dispatch_ptr 0
		.amdhsa_user_sgpr_queue_ptr 0
		.amdhsa_user_sgpr_kernarg_segment_ptr 1
		.amdhsa_user_sgpr_dispatch_id 0
		.amdhsa_user_sgpr_private_segment_size 0
		.amdhsa_wavefront_size32 1
		.amdhsa_uses_dynamic_stack 0
		.amdhsa_enable_private_segment 0
		.amdhsa_system_sgpr_workgroup_id_x 1
		.amdhsa_system_sgpr_workgroup_id_y 0
		.amdhsa_system_sgpr_workgroup_id_z 0
		.amdhsa_system_sgpr_workgroup_info 0
		.amdhsa_system_vgpr_workitem_id 0
		.amdhsa_next_free_vgpr 7
		.amdhsa_next_free_sgpr 16
		.amdhsa_reserve_vcc 1
		.amdhsa_float_round_mode_32 0
		.amdhsa_float_round_mode_16_64 0
		.amdhsa_float_denorm_mode_32 3
		.amdhsa_float_denorm_mode_16_64 3
		.amdhsa_dx10_clamp 1
		.amdhsa_ieee_mode 1
		.amdhsa_fp16_overflow 0
		.amdhsa_workgroup_processor_mode 1
		.amdhsa_memory_ordered 1
		.amdhsa_forward_progress 0
		.amdhsa_shared_vgpr_count 0
		.amdhsa_exception_fp_ieee_invalid_op 0
		.amdhsa_exception_fp_denorm_src 0
		.amdhsa_exception_fp_ieee_div_zero 0
		.amdhsa_exception_fp_ieee_overflow 0
		.amdhsa_exception_fp_ieee_underflow 0
		.amdhsa_exception_fp_ieee_inexact 0
		.amdhsa_exception_int_div_zero 0
	.end_amdhsa_kernel
	.section	.text._Z33tail_segmented_warp_reduce_kernelIihLj63ELj7EENSt9enable_ifIXsr10test_utilsE35device_test_enabled_for_warp_size_vIXT2_EEEvE4typeEPT_PT0_S4_,"axG",@progbits,_Z33tail_segmented_warp_reduce_kernelIihLj63ELj7EENSt9enable_ifIXsr10test_utilsE35device_test_enabled_for_warp_size_vIXT2_EEEvE4typeEPT_PT0_S4_,comdat
.Lfunc_end209:
	.size	_Z33tail_segmented_warp_reduce_kernelIihLj63ELj7EENSt9enable_ifIXsr10test_utilsE35device_test_enabled_for_warp_size_vIXT2_EEEvE4typeEPT_PT0_S4_, .Lfunc_end209-_Z33tail_segmented_warp_reduce_kernelIihLj63ELj7EENSt9enable_ifIXsr10test_utilsE35device_test_enabled_for_warp_size_vIXT2_EEEvE4typeEPT_PT0_S4_
                                        ; -- End function
	.section	.AMDGPU.csdata,"",@progbits
; Kernel info:
; codeLenInByte = 376
; NumSgprs: 18
; NumVgprs: 7
; ScratchSize: 0
; MemoryBound: 0
; FloatMode: 240
; IeeeMode: 1
; LDSByteSize: 252 bytes/workgroup (compile time only)
; SGPRBlocks: 2
; VGPRBlocks: 0
; NumSGPRsForWavesPerEU: 18
; NumVGPRsForWavesPerEU: 7
; Occupancy: 16
; WaveLimiterHint : 0
; COMPUTE_PGM_RSRC2:SCRATCH_EN: 0
; COMPUTE_PGM_RSRC2:USER_SGPR: 15
; COMPUTE_PGM_RSRC2:TRAP_HANDLER: 0
; COMPUTE_PGM_RSRC2:TGID_X_EN: 1
; COMPUTE_PGM_RSRC2:TGID_Y_EN: 0
; COMPUTE_PGM_RSRC2:TGID_Z_EN: 0
; COMPUTE_PGM_RSRC2:TIDIG_COMP_CNT: 0
	.section	.text._Z33tail_segmented_warp_reduce_kernelIihLj30ELj3EENSt9enable_ifIXsr10test_utilsE35device_test_enabled_for_warp_size_vIXT2_EEEvE4typeEPT_PT0_S4_,"axG",@progbits,_Z33tail_segmented_warp_reduce_kernelIihLj30ELj3EENSt9enable_ifIXsr10test_utilsE35device_test_enabled_for_warp_size_vIXT2_EEEvE4typeEPT_PT0_S4_,comdat
	.protected	_Z33tail_segmented_warp_reduce_kernelIihLj30ELj3EENSt9enable_ifIXsr10test_utilsE35device_test_enabled_for_warp_size_vIXT2_EEEvE4typeEPT_PT0_S4_ ; -- Begin function _Z33tail_segmented_warp_reduce_kernelIihLj30ELj3EENSt9enable_ifIXsr10test_utilsE35device_test_enabled_for_warp_size_vIXT2_EEEvE4typeEPT_PT0_S4_
	.globl	_Z33tail_segmented_warp_reduce_kernelIihLj30ELj3EENSt9enable_ifIXsr10test_utilsE35device_test_enabled_for_warp_size_vIXT2_EEEvE4typeEPT_PT0_S4_
	.p2align	8
	.type	_Z33tail_segmented_warp_reduce_kernelIihLj30ELj3EENSt9enable_ifIXsr10test_utilsE35device_test_enabled_for_warp_size_vIXT2_EEEvE4typeEPT_PT0_S4_,@function
_Z33tail_segmented_warp_reduce_kernelIihLj30ELj3EENSt9enable_ifIXsr10test_utilsE35device_test_enabled_for_warp_size_vIXT2_EEEvE4typeEPT_PT0_S4_: ; @_Z33tail_segmented_warp_reduce_kernelIihLj30ELj3EENSt9enable_ifIXsr10test_utilsE35device_test_enabled_for_warp_size_vIXT2_EEEvE4typeEPT_PT0_S4_
; %bb.0:
	s_clause 0x2
	s_load_b32 s2, s[0:1], 0x24
	s_load_b128 s[4:7], s[0:1], 0x0
	s_load_b64 s[0:1], s[0:1], 0x10
	s_waitcnt lgkmcnt(0)
	s_and_b32 s2, s2, 0xffff
	s_delay_alu instid0(SALU_CYCLE_1) | instskip(SKIP_3) | instid1(VALU_DEP_1)
	v_mad_u64_u32 v[1:2], null, s15, s2, v[0:1]
	v_mov_b32_e32 v2, 0
	v_mul_u32_u24_e32 v0, 0x5556, v0
	s_mov_b32 s2, exec_lo
	v_lshrrev_b32_e32 v0, 16, v0
	global_load_u8 v5, v1, s[6:7]
	v_lshlrev_b64 v[1:2], 2, v[1:2]
	s_delay_alu instid0(VALU_DEP_1) | instskip(NEXT) | instid1(VALU_DEP_2)
	v_add_co_u32 v3, vcc_lo, s4, v1
	v_add_co_ci_u32_e32 v4, vcc_lo, s5, v2, vcc_lo
	global_load_b32 v3, v[3:4], off
	v_mbcnt_lo_u32_b32 v4, -1, 0
	s_delay_alu instid0(VALU_DEP_1) | instskip(NEXT) | instid1(VALU_DEP_1)
	v_mul_hi_u32 v6, 0x55555556, v4
	v_mul_u32_u24_e32 v6, 3, v6
	s_waitcnt vmcnt(1)
	v_cmp_ne_u16_e32 vcc_lo, 0, v5
	v_lshlrev_b32_e64 v5, v4, -1
	s_delay_alu instid0(VALU_DEP_3) | instskip(NEXT) | instid1(VALU_DEP_2)
	v_sub_nc_u32_e32 v4, v4, v6
	v_and_b32_e32 v5, vcc_lo, v5
	s_delay_alu instid0(VALU_DEP_1) | instskip(NEXT) | instid1(VALU_DEP_3)
	v_lshrrev_b32_e32 v5, v6, v5
	v_lshlrev_b32_e32 v6, 2, v4
	s_delay_alu instid0(VALU_DEP_2) | instskip(NEXT) | instid1(VALU_DEP_2)
	v_or_b32_e32 v5, 4, v5
	v_mad_u32_u24 v0, v0, 12, v6
	s_delay_alu instid0(VALU_DEP_2)
	v_ctz_i32_b32_e32 v5, v5
	s_waitcnt vmcnt(0)
	ds_store_b32 v0, v3
	; wave barrier
	v_cmpx_lt_u32_e64 v4, v5
	s_cbranch_execz .LBB210_2
; %bb.1:
	ds_load_b32 v6, v0 offset:4
	s_waitcnt lgkmcnt(0)
	v_add_nc_u32_e32 v3, v6, v3
.LBB210_2:
	s_or_b32 exec_lo, exec_lo, s2
	v_add_nc_u32_e32 v4, 2, v4
	s_mov_b32 s2, exec_lo
	; wave barrier
	ds_store_b32 v0, v3
	; wave barrier
	v_cmpx_le_u32_e64 v4, v5
	s_cbranch_execz .LBB210_4
; %bb.3:
	ds_load_b32 v0, v0 offset:8
	s_waitcnt lgkmcnt(0)
	v_add_nc_u32_e32 v3, v0, v3
.LBB210_4:
	s_or_b32 exec_lo, exec_lo, s2
	v_add_co_u32 v0, vcc_lo, s0, v1
	v_add_co_ci_u32_e32 v1, vcc_lo, s1, v2, vcc_lo
	; wave barrier
	global_store_b32 v[0:1], v3, off
	s_nop 0
	s_sendmsg sendmsg(MSG_DEALLOC_VGPRS)
	s_endpgm
	.section	.rodata,"a",@progbits
	.p2align	6, 0x0
	.amdhsa_kernel _Z33tail_segmented_warp_reduce_kernelIihLj30ELj3EENSt9enable_ifIXsr10test_utilsE35device_test_enabled_for_warp_size_vIXT2_EEEvE4typeEPT_PT0_S4_
		.amdhsa_group_segment_fixed_size 120
		.amdhsa_private_segment_fixed_size 0
		.amdhsa_kernarg_size 280
		.amdhsa_user_sgpr_count 15
		.amdhsa_user_sgpr_dispatch_ptr 0
		.amdhsa_user_sgpr_queue_ptr 0
		.amdhsa_user_sgpr_kernarg_segment_ptr 1
		.amdhsa_user_sgpr_dispatch_id 0
		.amdhsa_user_sgpr_private_segment_size 0
		.amdhsa_wavefront_size32 1
		.amdhsa_uses_dynamic_stack 0
		.amdhsa_enable_private_segment 0
		.amdhsa_system_sgpr_workgroup_id_x 1
		.amdhsa_system_sgpr_workgroup_id_y 0
		.amdhsa_system_sgpr_workgroup_id_z 0
		.amdhsa_system_sgpr_workgroup_info 0
		.amdhsa_system_vgpr_workitem_id 0
		.amdhsa_next_free_vgpr 7
		.amdhsa_next_free_sgpr 16
		.amdhsa_reserve_vcc 1
		.amdhsa_float_round_mode_32 0
		.amdhsa_float_round_mode_16_64 0
		.amdhsa_float_denorm_mode_32 3
		.amdhsa_float_denorm_mode_16_64 3
		.amdhsa_dx10_clamp 1
		.amdhsa_ieee_mode 1
		.amdhsa_fp16_overflow 0
		.amdhsa_workgroup_processor_mode 1
		.amdhsa_memory_ordered 1
		.amdhsa_forward_progress 0
		.amdhsa_shared_vgpr_count 0
		.amdhsa_exception_fp_ieee_invalid_op 0
		.amdhsa_exception_fp_denorm_src 0
		.amdhsa_exception_fp_ieee_div_zero 0
		.amdhsa_exception_fp_ieee_overflow 0
		.amdhsa_exception_fp_ieee_underflow 0
		.amdhsa_exception_fp_ieee_inexact 0
		.amdhsa_exception_int_div_zero 0
	.end_amdhsa_kernel
	.section	.text._Z33tail_segmented_warp_reduce_kernelIihLj30ELj3EENSt9enable_ifIXsr10test_utilsE35device_test_enabled_for_warp_size_vIXT2_EEEvE4typeEPT_PT0_S4_,"axG",@progbits,_Z33tail_segmented_warp_reduce_kernelIihLj30ELj3EENSt9enable_ifIXsr10test_utilsE35device_test_enabled_for_warp_size_vIXT2_EEEvE4typeEPT_PT0_S4_,comdat
.Lfunc_end210:
	.size	_Z33tail_segmented_warp_reduce_kernelIihLj30ELj3EENSt9enable_ifIXsr10test_utilsE35device_test_enabled_for_warp_size_vIXT2_EEEvE4typeEPT_PT0_S4_, .Lfunc_end210-_Z33tail_segmented_warp_reduce_kernelIihLj30ELj3EENSt9enable_ifIXsr10test_utilsE35device_test_enabled_for_warp_size_vIXT2_EEEvE4typeEPT_PT0_S4_
                                        ; -- End function
	.section	.AMDGPU.csdata,"",@progbits
; Kernel info:
; codeLenInByte = 328
; NumSgprs: 18
; NumVgprs: 7
; ScratchSize: 0
; MemoryBound: 0
; FloatMode: 240
; IeeeMode: 1
; LDSByteSize: 120 bytes/workgroup (compile time only)
; SGPRBlocks: 2
; VGPRBlocks: 0
; NumSGPRsForWavesPerEU: 18
; NumVGPRsForWavesPerEU: 7
; Occupancy: 16
; WaveLimiterHint : 0
; COMPUTE_PGM_RSRC2:SCRATCH_EN: 0
; COMPUTE_PGM_RSRC2:USER_SGPR: 15
; COMPUTE_PGM_RSRC2:TRAP_HANDLER: 0
; COMPUTE_PGM_RSRC2:TGID_X_EN: 1
; COMPUTE_PGM_RSRC2:TGID_Y_EN: 0
; COMPUTE_PGM_RSRC2:TGID_Z_EN: 0
; COMPUTE_PGM_RSRC2:TIDIG_COMP_CNT: 0
	.section	.text._Z33tail_segmented_warp_reduce_kernelIihLj63ELj3EENSt9enable_ifIXsr10test_utilsE35device_test_enabled_for_warp_size_vIXT2_EEEvE4typeEPT_PT0_S4_,"axG",@progbits,_Z33tail_segmented_warp_reduce_kernelIihLj63ELj3EENSt9enable_ifIXsr10test_utilsE35device_test_enabled_for_warp_size_vIXT2_EEEvE4typeEPT_PT0_S4_,comdat
	.protected	_Z33tail_segmented_warp_reduce_kernelIihLj63ELj3EENSt9enable_ifIXsr10test_utilsE35device_test_enabled_for_warp_size_vIXT2_EEEvE4typeEPT_PT0_S4_ ; -- Begin function _Z33tail_segmented_warp_reduce_kernelIihLj63ELj3EENSt9enable_ifIXsr10test_utilsE35device_test_enabled_for_warp_size_vIXT2_EEEvE4typeEPT_PT0_S4_
	.globl	_Z33tail_segmented_warp_reduce_kernelIihLj63ELj3EENSt9enable_ifIXsr10test_utilsE35device_test_enabled_for_warp_size_vIXT2_EEEvE4typeEPT_PT0_S4_
	.p2align	8
	.type	_Z33tail_segmented_warp_reduce_kernelIihLj63ELj3EENSt9enable_ifIXsr10test_utilsE35device_test_enabled_for_warp_size_vIXT2_EEEvE4typeEPT_PT0_S4_,@function
_Z33tail_segmented_warp_reduce_kernelIihLj63ELj3EENSt9enable_ifIXsr10test_utilsE35device_test_enabled_for_warp_size_vIXT2_EEEvE4typeEPT_PT0_S4_: ; @_Z33tail_segmented_warp_reduce_kernelIihLj63ELj3EENSt9enable_ifIXsr10test_utilsE35device_test_enabled_for_warp_size_vIXT2_EEEvE4typeEPT_PT0_S4_
; %bb.0:
	s_clause 0x2
	s_load_b32 s2, s[0:1], 0x24
	s_load_b128 s[4:7], s[0:1], 0x0
	s_load_b64 s[0:1], s[0:1], 0x10
	s_waitcnt lgkmcnt(0)
	s_and_b32 s2, s2, 0xffff
	s_delay_alu instid0(SALU_CYCLE_1) | instskip(SKIP_3) | instid1(VALU_DEP_1)
	v_mad_u64_u32 v[1:2], null, s15, s2, v[0:1]
	v_mov_b32_e32 v2, 0
	v_mul_u32_u24_e32 v0, 0x5556, v0
	s_mov_b32 s2, exec_lo
	v_lshrrev_b32_e32 v0, 16, v0
	global_load_u8 v5, v1, s[6:7]
	v_lshlrev_b64 v[1:2], 2, v[1:2]
	s_delay_alu instid0(VALU_DEP_1) | instskip(NEXT) | instid1(VALU_DEP_2)
	v_add_co_u32 v3, vcc_lo, s4, v1
	v_add_co_ci_u32_e32 v4, vcc_lo, s5, v2, vcc_lo
	global_load_b32 v3, v[3:4], off
	v_mbcnt_lo_u32_b32 v4, -1, 0
	s_delay_alu instid0(VALU_DEP_1) | instskip(NEXT) | instid1(VALU_DEP_1)
	v_mul_hi_u32 v6, 0x55555556, v4
	v_mul_u32_u24_e32 v6, 3, v6
	s_waitcnt vmcnt(1)
	v_cmp_ne_u16_e32 vcc_lo, 0, v5
	v_lshlrev_b32_e64 v5, v4, -1
	s_delay_alu instid0(VALU_DEP_3) | instskip(NEXT) | instid1(VALU_DEP_2)
	v_sub_nc_u32_e32 v4, v4, v6
	v_and_b32_e32 v5, vcc_lo, v5
	s_delay_alu instid0(VALU_DEP_1) | instskip(NEXT) | instid1(VALU_DEP_3)
	v_lshrrev_b32_e32 v5, v6, v5
	v_lshlrev_b32_e32 v6, 2, v4
	s_delay_alu instid0(VALU_DEP_2) | instskip(NEXT) | instid1(VALU_DEP_2)
	v_or_b32_e32 v5, 4, v5
	v_mad_u32_u24 v0, v0, 12, v6
	s_delay_alu instid0(VALU_DEP_2)
	v_ctz_i32_b32_e32 v5, v5
	s_waitcnt vmcnt(0)
	ds_store_b32 v0, v3
	; wave barrier
	v_cmpx_lt_u32_e64 v4, v5
	s_cbranch_execz .LBB211_2
; %bb.1:
	ds_load_b32 v6, v0 offset:4
	s_waitcnt lgkmcnt(0)
	v_add_nc_u32_e32 v3, v6, v3
.LBB211_2:
	s_or_b32 exec_lo, exec_lo, s2
	v_add_nc_u32_e32 v4, 2, v4
	s_mov_b32 s2, exec_lo
	; wave barrier
	ds_store_b32 v0, v3
	; wave barrier
	v_cmpx_le_u32_e64 v4, v5
	s_cbranch_execz .LBB211_4
; %bb.3:
	ds_load_b32 v0, v0 offset:8
	s_waitcnt lgkmcnt(0)
	v_add_nc_u32_e32 v3, v0, v3
.LBB211_4:
	s_or_b32 exec_lo, exec_lo, s2
	v_add_co_u32 v0, vcc_lo, s0, v1
	v_add_co_ci_u32_e32 v1, vcc_lo, s1, v2, vcc_lo
	; wave barrier
	global_store_b32 v[0:1], v3, off
	s_nop 0
	s_sendmsg sendmsg(MSG_DEALLOC_VGPRS)
	s_endpgm
	.section	.rodata,"a",@progbits
	.p2align	6, 0x0
	.amdhsa_kernel _Z33tail_segmented_warp_reduce_kernelIihLj63ELj3EENSt9enable_ifIXsr10test_utilsE35device_test_enabled_for_warp_size_vIXT2_EEEvE4typeEPT_PT0_S4_
		.amdhsa_group_segment_fixed_size 252
		.amdhsa_private_segment_fixed_size 0
		.amdhsa_kernarg_size 280
		.amdhsa_user_sgpr_count 15
		.amdhsa_user_sgpr_dispatch_ptr 0
		.amdhsa_user_sgpr_queue_ptr 0
		.amdhsa_user_sgpr_kernarg_segment_ptr 1
		.amdhsa_user_sgpr_dispatch_id 0
		.amdhsa_user_sgpr_private_segment_size 0
		.amdhsa_wavefront_size32 1
		.amdhsa_uses_dynamic_stack 0
		.amdhsa_enable_private_segment 0
		.amdhsa_system_sgpr_workgroup_id_x 1
		.amdhsa_system_sgpr_workgroup_id_y 0
		.amdhsa_system_sgpr_workgroup_id_z 0
		.amdhsa_system_sgpr_workgroup_info 0
		.amdhsa_system_vgpr_workitem_id 0
		.amdhsa_next_free_vgpr 7
		.amdhsa_next_free_sgpr 16
		.amdhsa_reserve_vcc 1
		.amdhsa_float_round_mode_32 0
		.amdhsa_float_round_mode_16_64 0
		.amdhsa_float_denorm_mode_32 3
		.amdhsa_float_denorm_mode_16_64 3
		.amdhsa_dx10_clamp 1
		.amdhsa_ieee_mode 1
		.amdhsa_fp16_overflow 0
		.amdhsa_workgroup_processor_mode 1
		.amdhsa_memory_ordered 1
		.amdhsa_forward_progress 0
		.amdhsa_shared_vgpr_count 0
		.amdhsa_exception_fp_ieee_invalid_op 0
		.amdhsa_exception_fp_denorm_src 0
		.amdhsa_exception_fp_ieee_div_zero 0
		.amdhsa_exception_fp_ieee_overflow 0
		.amdhsa_exception_fp_ieee_underflow 0
		.amdhsa_exception_fp_ieee_inexact 0
		.amdhsa_exception_int_div_zero 0
	.end_amdhsa_kernel
	.section	.text._Z33tail_segmented_warp_reduce_kernelIihLj63ELj3EENSt9enable_ifIXsr10test_utilsE35device_test_enabled_for_warp_size_vIXT2_EEEvE4typeEPT_PT0_S4_,"axG",@progbits,_Z33tail_segmented_warp_reduce_kernelIihLj63ELj3EENSt9enable_ifIXsr10test_utilsE35device_test_enabled_for_warp_size_vIXT2_EEEvE4typeEPT_PT0_S4_,comdat
.Lfunc_end211:
	.size	_Z33tail_segmented_warp_reduce_kernelIihLj63ELj3EENSt9enable_ifIXsr10test_utilsE35device_test_enabled_for_warp_size_vIXT2_EEEvE4typeEPT_PT0_S4_, .Lfunc_end211-_Z33tail_segmented_warp_reduce_kernelIihLj63ELj3EENSt9enable_ifIXsr10test_utilsE35device_test_enabled_for_warp_size_vIXT2_EEEvE4typeEPT_PT0_S4_
                                        ; -- End function
	.section	.AMDGPU.csdata,"",@progbits
; Kernel info:
; codeLenInByte = 328
; NumSgprs: 18
; NumVgprs: 7
; ScratchSize: 0
; MemoryBound: 0
; FloatMode: 240
; IeeeMode: 1
; LDSByteSize: 252 bytes/workgroup (compile time only)
; SGPRBlocks: 2
; VGPRBlocks: 0
; NumSGPRsForWavesPerEU: 18
; NumVGPRsForWavesPerEU: 7
; Occupancy: 16
; WaveLimiterHint : 0
; COMPUTE_PGM_RSRC2:SCRATCH_EN: 0
; COMPUTE_PGM_RSRC2:USER_SGPR: 15
; COMPUTE_PGM_RSRC2:TRAP_HANDLER: 0
; COMPUTE_PGM_RSRC2:TGID_X_EN: 1
; COMPUTE_PGM_RSRC2:TGID_Y_EN: 0
; COMPUTE_PGM_RSRC2:TGID_Z_EN: 0
; COMPUTE_PGM_RSRC2:TIDIG_COMP_CNT: 0
	.section	.text._Z33tail_segmented_warp_reduce_kernelI12hip_bfloat16hLj256ELj64EENSt9enable_ifIXntsr10test_utilsE35device_test_enabled_for_warp_size_vIXT2_EEEvE4typeEPT_PT0_S5_,"axG",@progbits,_Z33tail_segmented_warp_reduce_kernelI12hip_bfloat16hLj256ELj64EENSt9enable_ifIXntsr10test_utilsE35device_test_enabled_for_warp_size_vIXT2_EEEvE4typeEPT_PT0_S5_,comdat
	.protected	_Z33tail_segmented_warp_reduce_kernelI12hip_bfloat16hLj256ELj64EENSt9enable_ifIXntsr10test_utilsE35device_test_enabled_for_warp_size_vIXT2_EEEvE4typeEPT_PT0_S5_ ; -- Begin function _Z33tail_segmented_warp_reduce_kernelI12hip_bfloat16hLj256ELj64EENSt9enable_ifIXntsr10test_utilsE35device_test_enabled_for_warp_size_vIXT2_EEEvE4typeEPT_PT0_S5_
	.globl	_Z33tail_segmented_warp_reduce_kernelI12hip_bfloat16hLj256ELj64EENSt9enable_ifIXntsr10test_utilsE35device_test_enabled_for_warp_size_vIXT2_EEEvE4typeEPT_PT0_S5_
	.p2align	8
	.type	_Z33tail_segmented_warp_reduce_kernelI12hip_bfloat16hLj256ELj64EENSt9enable_ifIXntsr10test_utilsE35device_test_enabled_for_warp_size_vIXT2_EEEvE4typeEPT_PT0_S5_,@function
_Z33tail_segmented_warp_reduce_kernelI12hip_bfloat16hLj256ELj64EENSt9enable_ifIXntsr10test_utilsE35device_test_enabled_for_warp_size_vIXT2_EEEvE4typeEPT_PT0_S5_: ; @_Z33tail_segmented_warp_reduce_kernelI12hip_bfloat16hLj256ELj64EENSt9enable_ifIXntsr10test_utilsE35device_test_enabled_for_warp_size_vIXT2_EEEvE4typeEPT_PT0_S5_
; %bb.0:
	s_endpgm
	.section	.rodata,"a",@progbits
	.p2align	6, 0x0
	.amdhsa_kernel _Z33tail_segmented_warp_reduce_kernelI12hip_bfloat16hLj256ELj64EENSt9enable_ifIXntsr10test_utilsE35device_test_enabled_for_warp_size_vIXT2_EEEvE4typeEPT_PT0_S5_
		.amdhsa_group_segment_fixed_size 0
		.amdhsa_private_segment_fixed_size 0
		.amdhsa_kernarg_size 24
		.amdhsa_user_sgpr_count 15
		.amdhsa_user_sgpr_dispatch_ptr 0
		.amdhsa_user_sgpr_queue_ptr 0
		.amdhsa_user_sgpr_kernarg_segment_ptr 1
		.amdhsa_user_sgpr_dispatch_id 0
		.amdhsa_user_sgpr_private_segment_size 0
		.amdhsa_wavefront_size32 1
		.amdhsa_uses_dynamic_stack 0
		.amdhsa_enable_private_segment 0
		.amdhsa_system_sgpr_workgroup_id_x 1
		.amdhsa_system_sgpr_workgroup_id_y 0
		.amdhsa_system_sgpr_workgroup_id_z 0
		.amdhsa_system_sgpr_workgroup_info 0
		.amdhsa_system_vgpr_workitem_id 0
		.amdhsa_next_free_vgpr 1
		.amdhsa_next_free_sgpr 1
		.amdhsa_reserve_vcc 0
		.amdhsa_float_round_mode_32 0
		.amdhsa_float_round_mode_16_64 0
		.amdhsa_float_denorm_mode_32 3
		.amdhsa_float_denorm_mode_16_64 3
		.amdhsa_dx10_clamp 1
		.amdhsa_ieee_mode 1
		.amdhsa_fp16_overflow 0
		.amdhsa_workgroup_processor_mode 1
		.amdhsa_memory_ordered 1
		.amdhsa_forward_progress 0
		.amdhsa_shared_vgpr_count 0
		.amdhsa_exception_fp_ieee_invalid_op 0
		.amdhsa_exception_fp_denorm_src 0
		.amdhsa_exception_fp_ieee_div_zero 0
		.amdhsa_exception_fp_ieee_overflow 0
		.amdhsa_exception_fp_ieee_underflow 0
		.amdhsa_exception_fp_ieee_inexact 0
		.amdhsa_exception_int_div_zero 0
	.end_amdhsa_kernel
	.section	.text._Z33tail_segmented_warp_reduce_kernelI12hip_bfloat16hLj256ELj64EENSt9enable_ifIXntsr10test_utilsE35device_test_enabled_for_warp_size_vIXT2_EEEvE4typeEPT_PT0_S5_,"axG",@progbits,_Z33tail_segmented_warp_reduce_kernelI12hip_bfloat16hLj256ELj64EENSt9enable_ifIXntsr10test_utilsE35device_test_enabled_for_warp_size_vIXT2_EEEvE4typeEPT_PT0_S5_,comdat
.Lfunc_end212:
	.size	_Z33tail_segmented_warp_reduce_kernelI12hip_bfloat16hLj256ELj64EENSt9enable_ifIXntsr10test_utilsE35device_test_enabled_for_warp_size_vIXT2_EEEvE4typeEPT_PT0_S5_, .Lfunc_end212-_Z33tail_segmented_warp_reduce_kernelI12hip_bfloat16hLj256ELj64EENSt9enable_ifIXntsr10test_utilsE35device_test_enabled_for_warp_size_vIXT2_EEEvE4typeEPT_PT0_S5_
                                        ; -- End function
	.section	.AMDGPU.csdata,"",@progbits
; Kernel info:
; codeLenInByte = 4
; NumSgprs: 0
; NumVgprs: 0
; ScratchSize: 0
; MemoryBound: 0
; FloatMode: 240
; IeeeMode: 1
; LDSByteSize: 0 bytes/workgroup (compile time only)
; SGPRBlocks: 0
; VGPRBlocks: 0
; NumSGPRsForWavesPerEU: 1
; NumVGPRsForWavesPerEU: 1
; Occupancy: 16
; WaveLimiterHint : 0
; COMPUTE_PGM_RSRC2:SCRATCH_EN: 0
; COMPUTE_PGM_RSRC2:USER_SGPR: 15
; COMPUTE_PGM_RSRC2:TRAP_HANDLER: 0
; COMPUTE_PGM_RSRC2:TGID_X_EN: 1
; COMPUTE_PGM_RSRC2:TGID_Y_EN: 0
; COMPUTE_PGM_RSRC2:TGID_Z_EN: 0
; COMPUTE_PGM_RSRC2:TIDIG_COMP_CNT: 0
	.section	.text._Z33tail_segmented_warp_reduce_kernelI12hip_bfloat16hLj128ELj32EENSt9enable_ifIXsr10test_utilsE35device_test_enabled_for_warp_size_vIXT2_EEEvE4typeEPT_PT0_S5_,"axG",@progbits,_Z33tail_segmented_warp_reduce_kernelI12hip_bfloat16hLj128ELj32EENSt9enable_ifIXsr10test_utilsE35device_test_enabled_for_warp_size_vIXT2_EEEvE4typeEPT_PT0_S5_,comdat
	.protected	_Z33tail_segmented_warp_reduce_kernelI12hip_bfloat16hLj128ELj32EENSt9enable_ifIXsr10test_utilsE35device_test_enabled_for_warp_size_vIXT2_EEEvE4typeEPT_PT0_S5_ ; -- Begin function _Z33tail_segmented_warp_reduce_kernelI12hip_bfloat16hLj128ELj32EENSt9enable_ifIXsr10test_utilsE35device_test_enabled_for_warp_size_vIXT2_EEEvE4typeEPT_PT0_S5_
	.globl	_Z33tail_segmented_warp_reduce_kernelI12hip_bfloat16hLj128ELj32EENSt9enable_ifIXsr10test_utilsE35device_test_enabled_for_warp_size_vIXT2_EEEvE4typeEPT_PT0_S5_
	.p2align	8
	.type	_Z33tail_segmented_warp_reduce_kernelI12hip_bfloat16hLj128ELj32EENSt9enable_ifIXsr10test_utilsE35device_test_enabled_for_warp_size_vIXT2_EEEvE4typeEPT_PT0_S5_,@function
_Z33tail_segmented_warp_reduce_kernelI12hip_bfloat16hLj128ELj32EENSt9enable_ifIXsr10test_utilsE35device_test_enabled_for_warp_size_vIXT2_EEEvE4typeEPT_PT0_S5_: ; @_Z33tail_segmented_warp_reduce_kernelI12hip_bfloat16hLj128ELj32EENSt9enable_ifIXsr10test_utilsE35device_test_enabled_for_warp_size_vIXT2_EEEvE4typeEPT_PT0_S5_
; %bb.0:
	s_clause 0x2
	s_load_b32 s2, s[0:1], 0x24
	s_load_b128 s[4:7], s[0:1], 0x0
	s_load_b64 s[0:1], s[0:1], 0x10
	s_waitcnt lgkmcnt(0)
	s_and_b32 s2, s2, 0xffff
	s_delay_alu instid0(SALU_CYCLE_1) | instskip(SKIP_2) | instid1(VALU_DEP_1)
	v_mad_u64_u32 v[2:3], null, s15, s2, v[0:1]
	v_mov_b32_e32 v3, 0
	s_mov_b32 s2, exec_lo
	v_lshlrev_b64 v[0:1], 1, v[2:3]
	s_delay_alu instid0(VALU_DEP_1) | instskip(NEXT) | instid1(VALU_DEP_2)
	v_add_co_u32 v3, vcc_lo, s4, v0
	v_add_co_ci_u32_e32 v4, vcc_lo, s5, v1, vcc_lo
	global_load_u16 v4, v[3:4], off
	global_load_u8 v3, v2, s[6:7]
	v_mbcnt_lo_u32_b32 v2, -1, 0
	s_delay_alu instid0(VALU_DEP_1) | instskip(SKIP_2) | instid1(VALU_DEP_1)
	v_cmp_ne_u32_e32 vcc_lo, 31, v2
	v_add_nc_u32_e32 v7, 1, v2
	v_add_co_ci_u32_e32 v6, vcc_lo, 0, v2, vcc_lo
	v_lshlrev_b32_e32 v6, 2, v6
	s_waitcnt vmcnt(1)
	v_and_b32_e32 v5, 0xffff, v4
	s_waitcnt vmcnt(0)
	v_cmp_ne_u16_e32 vcc_lo, 0, v3
	v_lshlrev_b32_e64 v3, v2, -1
	ds_bpermute_b32 v6, v6, v5
	v_and_or_b32 v3, v3, vcc_lo, 0x80000000
	s_delay_alu instid0(VALU_DEP_1) | instskip(NEXT) | instid1(VALU_DEP_1)
	v_ctz_i32_b32_e32 v3, v3
	v_cmpx_le_u32_e64 v7, v3
	s_cbranch_execz .LBB213_6
; %bb.1:
	v_lshlrev_b32_e32 v4, 16, v5
	s_waitcnt lgkmcnt(0)
	v_lshlrev_b32_e32 v5, 16, v6
	s_delay_alu instid0(VALU_DEP_1) | instskip(NEXT) | instid1(VALU_DEP_1)
	v_add_f32_e32 v4, v4, v5
	v_and_b32_e32 v5, 0x7f800000, v4
	s_delay_alu instid0(VALU_DEP_1) | instskip(SKIP_1) | instid1(SALU_CYCLE_1)
	v_cmp_ne_u32_e32 vcc_lo, 0x7f800000, v5
                                        ; implicit-def: $vgpr5
	s_and_saveexec_b32 s3, vcc_lo
	s_xor_b32 s3, exec_lo, s3
; %bb.2:
	v_bfe_u32 v5, v4, 16, 1
	s_delay_alu instid0(VALU_DEP_1)
	v_add3_u32 v5, v4, v5, 0x7fff
                                        ; implicit-def: $vgpr4
; %bb.3:
	s_and_not1_saveexec_b32 s3, s3
; %bb.4:
	v_and_b32_e32 v5, 0xffff, v4
	v_or_b32_e32 v6, 0x10000, v4
	s_delay_alu instid0(VALU_DEP_2) | instskip(NEXT) | instid1(VALU_DEP_2)
	v_cmp_eq_u32_e32 vcc_lo, 0, v5
	v_cndmask_b32_e32 v5, v6, v4, vcc_lo
; %bb.5:
	s_or_b32 exec_lo, exec_lo, s3
	s_delay_alu instid0(VALU_DEP_1) | instskip(NEXT) | instid1(VALU_DEP_1)
	v_lshrrev_b32_e32 v5, 16, v5
	v_mov_b32_e32 v4, v5
.LBB213_6:
	s_or_b32 exec_lo, exec_lo, s2
	v_cmp_gt_u32_e32 vcc_lo, 30, v2
	v_add_nc_u32_e32 v7, 2, v2
	s_mov_b32 s2, exec_lo
	s_waitcnt lgkmcnt(0)
	v_cndmask_b32_e64 v6, 0, 1, vcc_lo
	s_delay_alu instid0(VALU_DEP_1) | instskip(NEXT) | instid1(VALU_DEP_1)
	v_lshlrev_b32_e32 v6, 1, v6
	v_add_lshl_u32 v6, v6, v2, 2
	ds_bpermute_b32 v6, v6, v5
	v_cmpx_le_u32_e64 v7, v3
	s_cbranch_execz .LBB213_12
; %bb.7:
	v_lshlrev_b32_e32 v4, 16, v5
	s_waitcnt lgkmcnt(0)
	v_lshlrev_b32_e32 v5, 16, v6
	s_delay_alu instid0(VALU_DEP_1) | instskip(NEXT) | instid1(VALU_DEP_1)
	v_add_f32_e32 v4, v4, v5
	v_and_b32_e32 v5, 0x7f800000, v4
	s_delay_alu instid0(VALU_DEP_1) | instskip(SKIP_1) | instid1(SALU_CYCLE_1)
	v_cmp_ne_u32_e32 vcc_lo, 0x7f800000, v5
                                        ; implicit-def: $vgpr5
	s_and_saveexec_b32 s3, vcc_lo
	s_xor_b32 s3, exec_lo, s3
; %bb.8:
	v_bfe_u32 v5, v4, 16, 1
	s_delay_alu instid0(VALU_DEP_1)
	v_add3_u32 v5, v4, v5, 0x7fff
                                        ; implicit-def: $vgpr4
; %bb.9:
	s_and_not1_saveexec_b32 s3, s3
; %bb.10:
	v_and_b32_e32 v5, 0xffff, v4
	v_or_b32_e32 v6, 0x10000, v4
	s_delay_alu instid0(VALU_DEP_2) | instskip(NEXT) | instid1(VALU_DEP_2)
	v_cmp_eq_u32_e32 vcc_lo, 0, v5
	v_cndmask_b32_e32 v5, v6, v4, vcc_lo
; %bb.11:
	s_or_b32 exec_lo, exec_lo, s3
	s_delay_alu instid0(VALU_DEP_1) | instskip(NEXT) | instid1(VALU_DEP_1)
	v_lshrrev_b32_e32 v5, 16, v5
	v_mov_b32_e32 v4, v5
.LBB213_12:
	s_or_b32 exec_lo, exec_lo, s2
	v_cmp_gt_u32_e32 vcc_lo, 28, v2
	v_add_nc_u32_e32 v7, 4, v2
	s_mov_b32 s2, exec_lo
	s_waitcnt lgkmcnt(0)
	v_cndmask_b32_e64 v6, 0, 1, vcc_lo
	s_delay_alu instid0(VALU_DEP_1) | instskip(NEXT) | instid1(VALU_DEP_1)
	v_lshlrev_b32_e32 v6, 2, v6
	v_add_lshl_u32 v6, v6, v2, 2
	ds_bpermute_b32 v6, v6, v5
	;; [unrolled: 43-line block ×3, first 2 shown]
	v_cmpx_le_u32_e64 v7, v3
	s_cbranch_execz .LBB213_24
; %bb.19:
	v_lshlrev_b32_e32 v4, 16, v5
	s_waitcnt lgkmcnt(0)
	v_lshlrev_b32_e32 v5, 16, v6
	s_delay_alu instid0(VALU_DEP_1) | instskip(NEXT) | instid1(VALU_DEP_1)
	v_add_f32_e32 v4, v4, v5
	v_and_b32_e32 v5, 0x7f800000, v4
	s_delay_alu instid0(VALU_DEP_1) | instskip(SKIP_1) | instid1(SALU_CYCLE_1)
	v_cmp_ne_u32_e32 vcc_lo, 0x7f800000, v5
                                        ; implicit-def: $vgpr5
	s_and_saveexec_b32 s3, vcc_lo
	s_xor_b32 s3, exec_lo, s3
; %bb.20:
	v_bfe_u32 v5, v4, 16, 1
	s_delay_alu instid0(VALU_DEP_1)
	v_add3_u32 v5, v4, v5, 0x7fff
                                        ; implicit-def: $vgpr4
; %bb.21:
	s_and_not1_saveexec_b32 s3, s3
; %bb.22:
	v_and_b32_e32 v5, 0xffff, v4
	v_or_b32_e32 v6, 0x10000, v4
	s_delay_alu instid0(VALU_DEP_2) | instskip(NEXT) | instid1(VALU_DEP_2)
	v_cmp_eq_u32_e32 vcc_lo, 0, v5
	v_cndmask_b32_e32 v5, v6, v4, vcc_lo
; %bb.23:
	s_or_b32 exec_lo, exec_lo, s3
	s_delay_alu instid0(VALU_DEP_1) | instskip(NEXT) | instid1(VALU_DEP_1)
	v_lshrrev_b32_e32 v5, 16, v5
	v_mov_b32_e32 v4, v5
.LBB213_24:
	s_or_b32 exec_lo, exec_lo, s2
	v_cmp_gt_u32_e32 vcc_lo, 16, v2
	s_mov_b32 s2, exec_lo
	s_waitcnt lgkmcnt(0)
	v_cndmask_b32_e64 v6, 0, 1, vcc_lo
	s_delay_alu instid0(VALU_DEP_1) | instskip(NEXT) | instid1(VALU_DEP_1)
	v_lshlrev_b32_e32 v6, 4, v6
	v_add_lshl_u32 v6, v6, v2, 2
	v_add_nc_u32_e32 v2, 16, v2
	ds_bpermute_b32 v6, v6, v5
	v_cmpx_le_u32_e64 v2, v3
	s_cbranch_execz .LBB213_30
; %bb.25:
	v_lshlrev_b32_e32 v2, 16, v5
	s_waitcnt lgkmcnt(0)
	v_lshlrev_b32_e32 v3, 16, v6
	s_delay_alu instid0(VALU_DEP_1) | instskip(NEXT) | instid1(VALU_DEP_1)
	v_add_f32_e32 v2, v2, v3
	v_and_b32_e32 v3, 0x7f800000, v2
	s_delay_alu instid0(VALU_DEP_1) | instskip(SKIP_1) | instid1(SALU_CYCLE_1)
	v_cmp_ne_u32_e32 vcc_lo, 0x7f800000, v3
                                        ; implicit-def: $vgpr3
	s_and_saveexec_b32 s3, vcc_lo
	s_xor_b32 s3, exec_lo, s3
; %bb.26:
	v_bfe_u32 v3, v2, 16, 1
	s_delay_alu instid0(VALU_DEP_1)
	v_add3_u32 v3, v2, v3, 0x7fff
                                        ; implicit-def: $vgpr2
; %bb.27:
	s_and_not1_saveexec_b32 s3, s3
; %bb.28:
	v_and_b32_e32 v3, 0xffff, v2
	v_or_b32_e32 v4, 0x10000, v2
	s_delay_alu instid0(VALU_DEP_2) | instskip(NEXT) | instid1(VALU_DEP_2)
	v_cmp_eq_u32_e32 vcc_lo, 0, v3
	v_cndmask_b32_e32 v3, v4, v2, vcc_lo
; %bb.29:
	s_or_b32 exec_lo, exec_lo, s3
	s_delay_alu instid0(VALU_DEP_1)
	v_lshrrev_b32_e32 v4, 16, v3
.LBB213_30:
	s_or_b32 exec_lo, exec_lo, s2
	v_add_co_u32 v0, vcc_lo, s0, v0
	v_add_co_ci_u32_e32 v1, vcc_lo, s1, v1, vcc_lo
	global_store_b16 v[0:1], v4, off
	s_nop 0
	s_sendmsg sendmsg(MSG_DEALLOC_VGPRS)
	s_endpgm
	.section	.rodata,"a",@progbits
	.p2align	6, 0x0
	.amdhsa_kernel _Z33tail_segmented_warp_reduce_kernelI12hip_bfloat16hLj128ELj32EENSt9enable_ifIXsr10test_utilsE35device_test_enabled_for_warp_size_vIXT2_EEEvE4typeEPT_PT0_S5_
		.amdhsa_group_segment_fixed_size 0
		.amdhsa_private_segment_fixed_size 0
		.amdhsa_kernarg_size 280
		.amdhsa_user_sgpr_count 15
		.amdhsa_user_sgpr_dispatch_ptr 0
		.amdhsa_user_sgpr_queue_ptr 0
		.amdhsa_user_sgpr_kernarg_segment_ptr 1
		.amdhsa_user_sgpr_dispatch_id 0
		.amdhsa_user_sgpr_private_segment_size 0
		.amdhsa_wavefront_size32 1
		.amdhsa_uses_dynamic_stack 0
		.amdhsa_enable_private_segment 0
		.amdhsa_system_sgpr_workgroup_id_x 1
		.amdhsa_system_sgpr_workgroup_id_y 0
		.amdhsa_system_sgpr_workgroup_id_z 0
		.amdhsa_system_sgpr_workgroup_info 0
		.amdhsa_system_vgpr_workitem_id 0
		.amdhsa_next_free_vgpr 8
		.amdhsa_next_free_sgpr 16
		.amdhsa_reserve_vcc 1
		.amdhsa_float_round_mode_32 0
		.amdhsa_float_round_mode_16_64 0
		.amdhsa_float_denorm_mode_32 3
		.amdhsa_float_denorm_mode_16_64 3
		.amdhsa_dx10_clamp 1
		.amdhsa_ieee_mode 1
		.amdhsa_fp16_overflow 0
		.amdhsa_workgroup_processor_mode 1
		.amdhsa_memory_ordered 1
		.amdhsa_forward_progress 0
		.amdhsa_shared_vgpr_count 0
		.amdhsa_exception_fp_ieee_invalid_op 0
		.amdhsa_exception_fp_denorm_src 0
		.amdhsa_exception_fp_ieee_div_zero 0
		.amdhsa_exception_fp_ieee_overflow 0
		.amdhsa_exception_fp_ieee_underflow 0
		.amdhsa_exception_fp_ieee_inexact 0
		.amdhsa_exception_int_div_zero 0
	.end_amdhsa_kernel
	.section	.text._Z33tail_segmented_warp_reduce_kernelI12hip_bfloat16hLj128ELj32EENSt9enable_ifIXsr10test_utilsE35device_test_enabled_for_warp_size_vIXT2_EEEvE4typeEPT_PT0_S5_,"axG",@progbits,_Z33tail_segmented_warp_reduce_kernelI12hip_bfloat16hLj128ELj32EENSt9enable_ifIXsr10test_utilsE35device_test_enabled_for_warp_size_vIXT2_EEEvE4typeEPT_PT0_S5_,comdat
.Lfunc_end213:
	.size	_Z33tail_segmented_warp_reduce_kernelI12hip_bfloat16hLj128ELj32EENSt9enable_ifIXsr10test_utilsE35device_test_enabled_for_warp_size_vIXT2_EEEvE4typeEPT_PT0_S5_, .Lfunc_end213-_Z33tail_segmented_warp_reduce_kernelI12hip_bfloat16hLj128ELj32EENSt9enable_ifIXsr10test_utilsE35device_test_enabled_for_warp_size_vIXT2_EEEvE4typeEPT_PT0_S5_
                                        ; -- End function
	.section	.AMDGPU.csdata,"",@progbits
; Kernel info:
; codeLenInByte = 1084
; NumSgprs: 18
; NumVgprs: 8
; ScratchSize: 0
; MemoryBound: 0
; FloatMode: 240
; IeeeMode: 1
; LDSByteSize: 0 bytes/workgroup (compile time only)
; SGPRBlocks: 2
; VGPRBlocks: 0
; NumSGPRsForWavesPerEU: 18
; NumVGPRsForWavesPerEU: 8
; Occupancy: 16
; WaveLimiterHint : 0
; COMPUTE_PGM_RSRC2:SCRATCH_EN: 0
; COMPUTE_PGM_RSRC2:USER_SGPR: 15
; COMPUTE_PGM_RSRC2:TRAP_HANDLER: 0
; COMPUTE_PGM_RSRC2:TGID_X_EN: 1
; COMPUTE_PGM_RSRC2:TGID_Y_EN: 0
; COMPUTE_PGM_RSRC2:TGID_Z_EN: 0
; COMPUTE_PGM_RSRC2:TIDIG_COMP_CNT: 0
	.section	.text._Z33tail_segmented_warp_reduce_kernelI12hip_bfloat16hLj64ELj16EENSt9enable_ifIXsr10test_utilsE35device_test_enabled_for_warp_size_vIXT2_EEEvE4typeEPT_PT0_S5_,"axG",@progbits,_Z33tail_segmented_warp_reduce_kernelI12hip_bfloat16hLj64ELj16EENSt9enable_ifIXsr10test_utilsE35device_test_enabled_for_warp_size_vIXT2_EEEvE4typeEPT_PT0_S5_,comdat
	.protected	_Z33tail_segmented_warp_reduce_kernelI12hip_bfloat16hLj64ELj16EENSt9enable_ifIXsr10test_utilsE35device_test_enabled_for_warp_size_vIXT2_EEEvE4typeEPT_PT0_S5_ ; -- Begin function _Z33tail_segmented_warp_reduce_kernelI12hip_bfloat16hLj64ELj16EENSt9enable_ifIXsr10test_utilsE35device_test_enabled_for_warp_size_vIXT2_EEEvE4typeEPT_PT0_S5_
	.globl	_Z33tail_segmented_warp_reduce_kernelI12hip_bfloat16hLj64ELj16EENSt9enable_ifIXsr10test_utilsE35device_test_enabled_for_warp_size_vIXT2_EEEvE4typeEPT_PT0_S5_
	.p2align	8
	.type	_Z33tail_segmented_warp_reduce_kernelI12hip_bfloat16hLj64ELj16EENSt9enable_ifIXsr10test_utilsE35device_test_enabled_for_warp_size_vIXT2_EEEvE4typeEPT_PT0_S5_,@function
_Z33tail_segmented_warp_reduce_kernelI12hip_bfloat16hLj64ELj16EENSt9enable_ifIXsr10test_utilsE35device_test_enabled_for_warp_size_vIXT2_EEEvE4typeEPT_PT0_S5_: ; @_Z33tail_segmented_warp_reduce_kernelI12hip_bfloat16hLj64ELj16EENSt9enable_ifIXsr10test_utilsE35device_test_enabled_for_warp_size_vIXT2_EEEvE4typeEPT_PT0_S5_
; %bb.0:
	s_clause 0x1
	s_load_b32 s2, s[0:1], 0x24
	s_load_b128 s[4:7], s[0:1], 0x0
	s_waitcnt lgkmcnt(0)
	s_and_b32 s2, s2, 0xffff
	s_delay_alu instid0(SALU_CYCLE_1) | instskip(SKIP_2) | instid1(VALU_DEP_1)
	v_mad_u64_u32 v[2:3], null, s15, s2, v[0:1]
	v_mov_b32_e32 v3, 0
	s_load_b64 s[2:3], s[0:1], 0x10
	v_lshlrev_b64 v[0:1], 1, v[2:3]
	global_load_u8 v4, v2, s[6:7]
	v_add_co_u32 v2, vcc_lo, s4, v0
	v_add_co_ci_u32_e32 v3, vcc_lo, s5, v1, vcc_lo
	global_load_u16 v5, v[2:3], off
	v_mbcnt_lo_u32_b32 v2, -1, 0
	s_delay_alu instid0(VALU_DEP_1) | instskip(SKIP_2) | instid1(VALU_DEP_3)
	v_and_b32_e32 v3, 15, v2
	v_lshlrev_b32_e64 v6, v2, -1
	v_and_b32_e32 v7, 16, v2
	v_cmp_ne_u32_e64 s0, 15, v3
	s_waitcnt vmcnt(1)
	v_cmp_ne_u16_e32 vcc_lo, 0, v4
	s_delay_alu instid0(VALU_DEP_2) | instskip(SKIP_2) | instid1(VALU_DEP_2)
	v_add_co_ci_u32_e64 v4, s0, 0, v2, s0
	s_mov_b32 s0, exec_lo
	v_and_b32_e32 v8, vcc_lo, v6
	v_lshlrev_b32_e32 v4, 2, v4
	s_delay_alu instid0(VALU_DEP_2) | instskip(SKIP_4) | instid1(VALU_DEP_1)
	v_lshrrev_b32_e32 v8, v7, v8
	s_waitcnt vmcnt(0)
	v_and_b32_e32 v6, 0xffff, v5
	ds_bpermute_b32 v7, v4, v6
	v_or_b32_e32 v4, 0x8000, v8
	v_ctz_i32_b32_e32 v4, v4
	s_delay_alu instid0(VALU_DEP_1)
	v_cmpx_lt_u32_e64 v3, v4
	s_cbranch_execz .LBB214_6
; %bb.1:
	v_lshlrev_b32_e32 v5, 16, v6
	s_waitcnt lgkmcnt(0)
	v_lshlrev_b32_e32 v6, 16, v7
	s_delay_alu instid0(VALU_DEP_1) | instskip(NEXT) | instid1(VALU_DEP_1)
	v_add_f32_e32 v5, v5, v6
	v_and_b32_e32 v6, 0x7f800000, v5
	s_delay_alu instid0(VALU_DEP_1) | instskip(SKIP_1) | instid1(SALU_CYCLE_1)
	v_cmp_ne_u32_e32 vcc_lo, 0x7f800000, v6
                                        ; implicit-def: $vgpr6
	s_and_saveexec_b32 s1, vcc_lo
	s_xor_b32 s1, exec_lo, s1
; %bb.2:
	v_bfe_u32 v6, v5, 16, 1
	s_delay_alu instid0(VALU_DEP_1)
	v_add3_u32 v6, v5, v6, 0x7fff
                                        ; implicit-def: $vgpr5
; %bb.3:
	s_and_not1_saveexec_b32 s1, s1
; %bb.4:
	v_and_b32_e32 v6, 0xffff, v5
	v_or_b32_e32 v7, 0x10000, v5
	s_delay_alu instid0(VALU_DEP_2) | instskip(NEXT) | instid1(VALU_DEP_2)
	v_cmp_eq_u32_e32 vcc_lo, 0, v6
	v_cndmask_b32_e32 v6, v7, v5, vcc_lo
; %bb.5:
	s_or_b32 exec_lo, exec_lo, s1
	s_delay_alu instid0(VALU_DEP_1) | instskip(NEXT) | instid1(VALU_DEP_1)
	v_lshrrev_b32_e32 v6, 16, v6
	v_mov_b32_e32 v5, v6
.LBB214_6:
	s_or_b32 exec_lo, exec_lo, s0
	v_cmp_gt_u32_e32 vcc_lo, 14, v3
	v_add_nc_u32_e32 v8, 2, v3
	s_mov_b32 s0, exec_lo
	s_waitcnt lgkmcnt(0)
	v_cndmask_b32_e64 v7, 0, 1, vcc_lo
	s_delay_alu instid0(VALU_DEP_1) | instskip(NEXT) | instid1(VALU_DEP_1)
	v_lshlrev_b32_e32 v7, 1, v7
	v_add_lshl_u32 v7, v7, v2, 2
	ds_bpermute_b32 v7, v7, v6
	v_cmpx_le_u32_e64 v8, v4
	s_cbranch_execz .LBB214_12
; %bb.7:
	v_lshlrev_b32_e32 v5, 16, v6
	s_waitcnt lgkmcnt(0)
	v_lshlrev_b32_e32 v6, 16, v7
	s_delay_alu instid0(VALU_DEP_1) | instskip(NEXT) | instid1(VALU_DEP_1)
	v_add_f32_e32 v5, v5, v6
	v_and_b32_e32 v6, 0x7f800000, v5
	s_delay_alu instid0(VALU_DEP_1) | instskip(SKIP_1) | instid1(SALU_CYCLE_1)
	v_cmp_ne_u32_e32 vcc_lo, 0x7f800000, v6
                                        ; implicit-def: $vgpr6
	s_and_saveexec_b32 s1, vcc_lo
	s_xor_b32 s1, exec_lo, s1
; %bb.8:
	v_bfe_u32 v6, v5, 16, 1
	s_delay_alu instid0(VALU_DEP_1)
	v_add3_u32 v6, v5, v6, 0x7fff
                                        ; implicit-def: $vgpr5
; %bb.9:
	s_and_not1_saveexec_b32 s1, s1
; %bb.10:
	v_and_b32_e32 v6, 0xffff, v5
	v_or_b32_e32 v7, 0x10000, v5
	s_delay_alu instid0(VALU_DEP_2) | instskip(NEXT) | instid1(VALU_DEP_2)
	v_cmp_eq_u32_e32 vcc_lo, 0, v6
	v_cndmask_b32_e32 v6, v7, v5, vcc_lo
; %bb.11:
	s_or_b32 exec_lo, exec_lo, s1
	s_delay_alu instid0(VALU_DEP_1) | instskip(NEXT) | instid1(VALU_DEP_1)
	v_lshrrev_b32_e32 v6, 16, v6
	v_mov_b32_e32 v5, v6
.LBB214_12:
	s_or_b32 exec_lo, exec_lo, s0
	v_cmp_gt_u32_e32 vcc_lo, 12, v3
	v_add_nc_u32_e32 v8, 4, v3
	s_mov_b32 s0, exec_lo
	s_waitcnt lgkmcnt(0)
	v_cndmask_b32_e64 v7, 0, 1, vcc_lo
	s_delay_alu instid0(VALU_DEP_1) | instskip(NEXT) | instid1(VALU_DEP_1)
	v_lshlrev_b32_e32 v7, 2, v7
	v_add_lshl_u32 v7, v7, v2, 2
	ds_bpermute_b32 v7, v7, v6
	v_cmpx_le_u32_e64 v8, v4
	;; [unrolled: 43-line block ×3, first 2 shown]
	s_cbranch_execz .LBB214_24
; %bb.19:
	v_lshlrev_b32_e32 v3, 16, v6
	s_waitcnt lgkmcnt(0)
	v_lshlrev_b32_e32 v2, 16, v2
	s_delay_alu instid0(VALU_DEP_1) | instskip(NEXT) | instid1(VALU_DEP_1)
	v_add_f32_e32 v2, v3, v2
	v_and_b32_e32 v3, 0x7f800000, v2
	s_delay_alu instid0(VALU_DEP_1) | instskip(SKIP_1) | instid1(SALU_CYCLE_1)
	v_cmp_ne_u32_e32 vcc_lo, 0x7f800000, v3
                                        ; implicit-def: $vgpr3
	s_and_saveexec_b32 s1, vcc_lo
	s_xor_b32 s1, exec_lo, s1
; %bb.20:
	v_bfe_u32 v3, v2, 16, 1
	s_delay_alu instid0(VALU_DEP_1)
	v_add3_u32 v3, v2, v3, 0x7fff
                                        ; implicit-def: $vgpr2
; %bb.21:
	s_and_not1_saveexec_b32 s1, s1
; %bb.22:
	v_and_b32_e32 v3, 0xffff, v2
	v_or_b32_e32 v4, 0x10000, v2
	s_delay_alu instid0(VALU_DEP_2) | instskip(NEXT) | instid1(VALU_DEP_2)
	v_cmp_eq_u32_e32 vcc_lo, 0, v3
	v_cndmask_b32_e32 v3, v4, v2, vcc_lo
; %bb.23:
	s_or_b32 exec_lo, exec_lo, s1
	s_delay_alu instid0(VALU_DEP_1)
	v_lshrrev_b32_e32 v5, 16, v3
.LBB214_24:
	s_or_b32 exec_lo, exec_lo, s0
	v_add_co_u32 v0, vcc_lo, s2, v0
	v_add_co_ci_u32_e32 v1, vcc_lo, s3, v1, vcc_lo
	global_store_b16 v[0:1], v5, off
	s_nop 0
	s_sendmsg sendmsg(MSG_DEALLOC_VGPRS)
	s_endpgm
	.section	.rodata,"a",@progbits
	.p2align	6, 0x0
	.amdhsa_kernel _Z33tail_segmented_warp_reduce_kernelI12hip_bfloat16hLj64ELj16EENSt9enable_ifIXsr10test_utilsE35device_test_enabled_for_warp_size_vIXT2_EEEvE4typeEPT_PT0_S5_
		.amdhsa_group_segment_fixed_size 0
		.amdhsa_private_segment_fixed_size 0
		.amdhsa_kernarg_size 280
		.amdhsa_user_sgpr_count 15
		.amdhsa_user_sgpr_dispatch_ptr 0
		.amdhsa_user_sgpr_queue_ptr 0
		.amdhsa_user_sgpr_kernarg_segment_ptr 1
		.amdhsa_user_sgpr_dispatch_id 0
		.amdhsa_user_sgpr_private_segment_size 0
		.amdhsa_wavefront_size32 1
		.amdhsa_uses_dynamic_stack 0
		.amdhsa_enable_private_segment 0
		.amdhsa_system_sgpr_workgroup_id_x 1
		.amdhsa_system_sgpr_workgroup_id_y 0
		.amdhsa_system_sgpr_workgroup_id_z 0
		.amdhsa_system_sgpr_workgroup_info 0
		.amdhsa_system_vgpr_workitem_id 0
		.amdhsa_next_free_vgpr 9
		.amdhsa_next_free_sgpr 16
		.amdhsa_reserve_vcc 1
		.amdhsa_float_round_mode_32 0
		.amdhsa_float_round_mode_16_64 0
		.amdhsa_float_denorm_mode_32 3
		.amdhsa_float_denorm_mode_16_64 3
		.amdhsa_dx10_clamp 1
		.amdhsa_ieee_mode 1
		.amdhsa_fp16_overflow 0
		.amdhsa_workgroup_processor_mode 1
		.amdhsa_memory_ordered 1
		.amdhsa_forward_progress 0
		.amdhsa_shared_vgpr_count 0
		.amdhsa_exception_fp_ieee_invalid_op 0
		.amdhsa_exception_fp_denorm_src 0
		.amdhsa_exception_fp_ieee_div_zero 0
		.amdhsa_exception_fp_ieee_overflow 0
		.amdhsa_exception_fp_ieee_underflow 0
		.amdhsa_exception_fp_ieee_inexact 0
		.amdhsa_exception_int_div_zero 0
	.end_amdhsa_kernel
	.section	.text._Z33tail_segmented_warp_reduce_kernelI12hip_bfloat16hLj64ELj16EENSt9enable_ifIXsr10test_utilsE35device_test_enabled_for_warp_size_vIXT2_EEEvE4typeEPT_PT0_S5_,"axG",@progbits,_Z33tail_segmented_warp_reduce_kernelI12hip_bfloat16hLj64ELj16EENSt9enable_ifIXsr10test_utilsE35device_test_enabled_for_warp_size_vIXT2_EEEvE4typeEPT_PT0_S5_,comdat
.Lfunc_end214:
	.size	_Z33tail_segmented_warp_reduce_kernelI12hip_bfloat16hLj64ELj16EENSt9enable_ifIXsr10test_utilsE35device_test_enabled_for_warp_size_vIXT2_EEEvE4typeEPT_PT0_S5_, .Lfunc_end214-_Z33tail_segmented_warp_reduce_kernelI12hip_bfloat16hLj64ELj16EENSt9enable_ifIXsr10test_utilsE35device_test_enabled_for_warp_size_vIXT2_EEEvE4typeEPT_PT0_S5_
                                        ; -- End function
	.section	.AMDGPU.csdata,"",@progbits
; Kernel info:
; codeLenInByte = 920
; NumSgprs: 18
; NumVgprs: 9
; ScratchSize: 0
; MemoryBound: 0
; FloatMode: 240
; IeeeMode: 1
; LDSByteSize: 0 bytes/workgroup (compile time only)
; SGPRBlocks: 2
; VGPRBlocks: 1
; NumSGPRsForWavesPerEU: 18
; NumVGPRsForWavesPerEU: 9
; Occupancy: 16
; WaveLimiterHint : 0
; COMPUTE_PGM_RSRC2:SCRATCH_EN: 0
; COMPUTE_PGM_RSRC2:USER_SGPR: 15
; COMPUTE_PGM_RSRC2:TRAP_HANDLER: 0
; COMPUTE_PGM_RSRC2:TGID_X_EN: 1
; COMPUTE_PGM_RSRC2:TGID_Y_EN: 0
; COMPUTE_PGM_RSRC2:TGID_Z_EN: 0
; COMPUTE_PGM_RSRC2:TIDIG_COMP_CNT: 0
	.section	.text._Z33tail_segmented_warp_reduce_kernelI12hip_bfloat16hLj32ELj8EENSt9enable_ifIXsr10test_utilsE35device_test_enabled_for_warp_size_vIXT2_EEEvE4typeEPT_PT0_S5_,"axG",@progbits,_Z33tail_segmented_warp_reduce_kernelI12hip_bfloat16hLj32ELj8EENSt9enable_ifIXsr10test_utilsE35device_test_enabled_for_warp_size_vIXT2_EEEvE4typeEPT_PT0_S5_,comdat
	.protected	_Z33tail_segmented_warp_reduce_kernelI12hip_bfloat16hLj32ELj8EENSt9enable_ifIXsr10test_utilsE35device_test_enabled_for_warp_size_vIXT2_EEEvE4typeEPT_PT0_S5_ ; -- Begin function _Z33tail_segmented_warp_reduce_kernelI12hip_bfloat16hLj32ELj8EENSt9enable_ifIXsr10test_utilsE35device_test_enabled_for_warp_size_vIXT2_EEEvE4typeEPT_PT0_S5_
	.globl	_Z33tail_segmented_warp_reduce_kernelI12hip_bfloat16hLj32ELj8EENSt9enable_ifIXsr10test_utilsE35device_test_enabled_for_warp_size_vIXT2_EEEvE4typeEPT_PT0_S5_
	.p2align	8
	.type	_Z33tail_segmented_warp_reduce_kernelI12hip_bfloat16hLj32ELj8EENSt9enable_ifIXsr10test_utilsE35device_test_enabled_for_warp_size_vIXT2_EEEvE4typeEPT_PT0_S5_,@function
_Z33tail_segmented_warp_reduce_kernelI12hip_bfloat16hLj32ELj8EENSt9enable_ifIXsr10test_utilsE35device_test_enabled_for_warp_size_vIXT2_EEEvE4typeEPT_PT0_S5_: ; @_Z33tail_segmented_warp_reduce_kernelI12hip_bfloat16hLj32ELj8EENSt9enable_ifIXsr10test_utilsE35device_test_enabled_for_warp_size_vIXT2_EEEvE4typeEPT_PT0_S5_
; %bb.0:
	s_clause 0x1
	s_load_b32 s2, s[0:1], 0x24
	s_load_b128 s[4:7], s[0:1], 0x0
	s_waitcnt lgkmcnt(0)
	s_and_b32 s2, s2, 0xffff
	s_delay_alu instid0(SALU_CYCLE_1) | instskip(SKIP_2) | instid1(VALU_DEP_1)
	v_mad_u64_u32 v[2:3], null, s15, s2, v[0:1]
	v_mov_b32_e32 v3, 0
	s_load_b64 s[2:3], s[0:1], 0x10
	v_lshlrev_b64 v[0:1], 1, v[2:3]
	global_load_u8 v4, v2, s[6:7]
	v_add_co_u32 v2, vcc_lo, s4, v0
	v_add_co_ci_u32_e32 v3, vcc_lo, s5, v1, vcc_lo
	global_load_u16 v5, v[2:3], off
	v_mbcnt_lo_u32_b32 v2, -1, 0
	s_delay_alu instid0(VALU_DEP_1) | instskip(SKIP_2) | instid1(VALU_DEP_3)
	v_and_b32_e32 v3, 7, v2
	v_lshlrev_b32_e64 v6, v2, -1
	v_and_b32_e32 v7, 24, v2
	v_cmp_ne_u32_e64 s0, 7, v3
	s_waitcnt vmcnt(1)
	v_cmp_ne_u16_e32 vcc_lo, 0, v4
	s_delay_alu instid0(VALU_DEP_2) | instskip(SKIP_2) | instid1(VALU_DEP_2)
	v_add_co_ci_u32_e64 v4, s0, 0, v2, s0
	s_mov_b32 s0, exec_lo
	v_and_b32_e32 v8, vcc_lo, v6
	v_lshlrev_b32_e32 v4, 2, v4
	s_delay_alu instid0(VALU_DEP_2) | instskip(SKIP_4) | instid1(VALU_DEP_1)
	v_lshrrev_b32_e32 v8, v7, v8
	s_waitcnt vmcnt(0)
	v_and_b32_e32 v6, 0xffff, v5
	ds_bpermute_b32 v7, v4, v6
	v_or_b32_e32 v4, 0x80, v8
	v_ctz_i32_b32_e32 v4, v4
	s_delay_alu instid0(VALU_DEP_1)
	v_cmpx_lt_u32_e64 v3, v4
	s_cbranch_execz .LBB215_6
; %bb.1:
	v_lshlrev_b32_e32 v5, 16, v6
	s_waitcnt lgkmcnt(0)
	v_lshlrev_b32_e32 v6, 16, v7
	s_delay_alu instid0(VALU_DEP_1) | instskip(NEXT) | instid1(VALU_DEP_1)
	v_add_f32_e32 v5, v5, v6
	v_and_b32_e32 v6, 0x7f800000, v5
	s_delay_alu instid0(VALU_DEP_1) | instskip(SKIP_1) | instid1(SALU_CYCLE_1)
	v_cmp_ne_u32_e32 vcc_lo, 0x7f800000, v6
                                        ; implicit-def: $vgpr6
	s_and_saveexec_b32 s1, vcc_lo
	s_xor_b32 s1, exec_lo, s1
; %bb.2:
	v_bfe_u32 v6, v5, 16, 1
	s_delay_alu instid0(VALU_DEP_1)
	v_add3_u32 v6, v5, v6, 0x7fff
                                        ; implicit-def: $vgpr5
; %bb.3:
	s_and_not1_saveexec_b32 s1, s1
; %bb.4:
	v_and_b32_e32 v6, 0xffff, v5
	v_or_b32_e32 v7, 0x10000, v5
	s_delay_alu instid0(VALU_DEP_2) | instskip(NEXT) | instid1(VALU_DEP_2)
	v_cmp_eq_u32_e32 vcc_lo, 0, v6
	v_cndmask_b32_e32 v6, v7, v5, vcc_lo
; %bb.5:
	s_or_b32 exec_lo, exec_lo, s1
	s_delay_alu instid0(VALU_DEP_1) | instskip(NEXT) | instid1(VALU_DEP_1)
	v_lshrrev_b32_e32 v6, 16, v6
	v_mov_b32_e32 v5, v6
.LBB215_6:
	s_or_b32 exec_lo, exec_lo, s0
	v_cmp_gt_u32_e32 vcc_lo, 6, v3
	v_add_nc_u32_e32 v8, 2, v3
	s_mov_b32 s0, exec_lo
	s_waitcnt lgkmcnt(0)
	v_cndmask_b32_e64 v7, 0, 1, vcc_lo
	s_delay_alu instid0(VALU_DEP_1) | instskip(NEXT) | instid1(VALU_DEP_1)
	v_lshlrev_b32_e32 v7, 1, v7
	v_add_lshl_u32 v7, v7, v2, 2
	ds_bpermute_b32 v7, v7, v6
	v_cmpx_le_u32_e64 v8, v4
	s_cbranch_execz .LBB215_12
; %bb.7:
	v_lshlrev_b32_e32 v5, 16, v6
	s_waitcnt lgkmcnt(0)
	v_lshlrev_b32_e32 v6, 16, v7
	s_delay_alu instid0(VALU_DEP_1) | instskip(NEXT) | instid1(VALU_DEP_1)
	v_add_f32_e32 v5, v5, v6
	v_and_b32_e32 v6, 0x7f800000, v5
	s_delay_alu instid0(VALU_DEP_1) | instskip(SKIP_1) | instid1(SALU_CYCLE_1)
	v_cmp_ne_u32_e32 vcc_lo, 0x7f800000, v6
                                        ; implicit-def: $vgpr6
	s_and_saveexec_b32 s1, vcc_lo
	s_xor_b32 s1, exec_lo, s1
; %bb.8:
	v_bfe_u32 v6, v5, 16, 1
	s_delay_alu instid0(VALU_DEP_1)
	v_add3_u32 v6, v5, v6, 0x7fff
                                        ; implicit-def: $vgpr5
; %bb.9:
	s_and_not1_saveexec_b32 s1, s1
; %bb.10:
	v_and_b32_e32 v6, 0xffff, v5
	v_or_b32_e32 v7, 0x10000, v5
	s_delay_alu instid0(VALU_DEP_2) | instskip(NEXT) | instid1(VALU_DEP_2)
	v_cmp_eq_u32_e32 vcc_lo, 0, v6
	v_cndmask_b32_e32 v6, v7, v5, vcc_lo
; %bb.11:
	s_or_b32 exec_lo, exec_lo, s1
	s_delay_alu instid0(VALU_DEP_1) | instskip(NEXT) | instid1(VALU_DEP_1)
	v_lshrrev_b32_e32 v6, 16, v6
	v_mov_b32_e32 v5, v6
.LBB215_12:
	s_or_b32 exec_lo, exec_lo, s0
	v_cmp_gt_u32_e32 vcc_lo, 4, v3
	v_add_nc_u32_e32 v3, 4, v3
	s_mov_b32 s0, exec_lo
	s_waitcnt lgkmcnt(0)
	v_cndmask_b32_e64 v7, 0, 1, vcc_lo
	s_delay_alu instid0(VALU_DEP_1) | instskip(NEXT) | instid1(VALU_DEP_1)
	v_lshlrev_b32_e32 v7, 2, v7
	v_add_lshl_u32 v2, v7, v2, 2
	ds_bpermute_b32 v2, v2, v6
	v_cmpx_le_u32_e64 v3, v4
	s_cbranch_execz .LBB215_18
; %bb.13:
	v_lshlrev_b32_e32 v3, 16, v6
	s_waitcnt lgkmcnt(0)
	v_lshlrev_b32_e32 v2, 16, v2
	s_delay_alu instid0(VALU_DEP_1) | instskip(NEXT) | instid1(VALU_DEP_1)
	v_add_f32_e32 v2, v3, v2
	v_and_b32_e32 v3, 0x7f800000, v2
	s_delay_alu instid0(VALU_DEP_1) | instskip(SKIP_1) | instid1(SALU_CYCLE_1)
	v_cmp_ne_u32_e32 vcc_lo, 0x7f800000, v3
                                        ; implicit-def: $vgpr3
	s_and_saveexec_b32 s1, vcc_lo
	s_xor_b32 s1, exec_lo, s1
; %bb.14:
	v_bfe_u32 v3, v2, 16, 1
	s_delay_alu instid0(VALU_DEP_1)
	v_add3_u32 v3, v2, v3, 0x7fff
                                        ; implicit-def: $vgpr2
; %bb.15:
	s_and_not1_saveexec_b32 s1, s1
; %bb.16:
	v_and_b32_e32 v3, 0xffff, v2
	v_or_b32_e32 v4, 0x10000, v2
	s_delay_alu instid0(VALU_DEP_2) | instskip(NEXT) | instid1(VALU_DEP_2)
	v_cmp_eq_u32_e32 vcc_lo, 0, v3
	v_cndmask_b32_e32 v3, v4, v2, vcc_lo
; %bb.17:
	s_or_b32 exec_lo, exec_lo, s1
	s_delay_alu instid0(VALU_DEP_1)
	v_lshrrev_b32_e32 v5, 16, v3
.LBB215_18:
	s_or_b32 exec_lo, exec_lo, s0
	v_add_co_u32 v0, vcc_lo, s2, v0
	v_add_co_ci_u32_e32 v1, vcc_lo, s3, v1, vcc_lo
	global_store_b16 v[0:1], v5, off
	s_nop 0
	s_sendmsg sendmsg(MSG_DEALLOC_VGPRS)
	s_endpgm
	.section	.rodata,"a",@progbits
	.p2align	6, 0x0
	.amdhsa_kernel _Z33tail_segmented_warp_reduce_kernelI12hip_bfloat16hLj32ELj8EENSt9enable_ifIXsr10test_utilsE35device_test_enabled_for_warp_size_vIXT2_EEEvE4typeEPT_PT0_S5_
		.amdhsa_group_segment_fixed_size 0
		.amdhsa_private_segment_fixed_size 0
		.amdhsa_kernarg_size 280
		.amdhsa_user_sgpr_count 15
		.amdhsa_user_sgpr_dispatch_ptr 0
		.amdhsa_user_sgpr_queue_ptr 0
		.amdhsa_user_sgpr_kernarg_segment_ptr 1
		.amdhsa_user_sgpr_dispatch_id 0
		.amdhsa_user_sgpr_private_segment_size 0
		.amdhsa_wavefront_size32 1
		.amdhsa_uses_dynamic_stack 0
		.amdhsa_enable_private_segment 0
		.amdhsa_system_sgpr_workgroup_id_x 1
		.amdhsa_system_sgpr_workgroup_id_y 0
		.amdhsa_system_sgpr_workgroup_id_z 0
		.amdhsa_system_sgpr_workgroup_info 0
		.amdhsa_system_vgpr_workitem_id 0
		.amdhsa_next_free_vgpr 9
		.amdhsa_next_free_sgpr 16
		.amdhsa_reserve_vcc 1
		.amdhsa_float_round_mode_32 0
		.amdhsa_float_round_mode_16_64 0
		.amdhsa_float_denorm_mode_32 3
		.amdhsa_float_denorm_mode_16_64 3
		.amdhsa_dx10_clamp 1
		.amdhsa_ieee_mode 1
		.amdhsa_fp16_overflow 0
		.amdhsa_workgroup_processor_mode 1
		.amdhsa_memory_ordered 1
		.amdhsa_forward_progress 0
		.amdhsa_shared_vgpr_count 0
		.amdhsa_exception_fp_ieee_invalid_op 0
		.amdhsa_exception_fp_denorm_src 0
		.amdhsa_exception_fp_ieee_div_zero 0
		.amdhsa_exception_fp_ieee_overflow 0
		.amdhsa_exception_fp_ieee_underflow 0
		.amdhsa_exception_fp_ieee_inexact 0
		.amdhsa_exception_int_div_zero 0
	.end_amdhsa_kernel
	.section	.text._Z33tail_segmented_warp_reduce_kernelI12hip_bfloat16hLj32ELj8EENSt9enable_ifIXsr10test_utilsE35device_test_enabled_for_warp_size_vIXT2_EEEvE4typeEPT_PT0_S5_,"axG",@progbits,_Z33tail_segmented_warp_reduce_kernelI12hip_bfloat16hLj32ELj8EENSt9enable_ifIXsr10test_utilsE35device_test_enabled_for_warp_size_vIXT2_EEEvE4typeEPT_PT0_S5_,comdat
.Lfunc_end215:
	.size	_Z33tail_segmented_warp_reduce_kernelI12hip_bfloat16hLj32ELj8EENSt9enable_ifIXsr10test_utilsE35device_test_enabled_for_warp_size_vIXT2_EEEvE4typeEPT_PT0_S5_, .Lfunc_end215-_Z33tail_segmented_warp_reduce_kernelI12hip_bfloat16hLj32ELj8EENSt9enable_ifIXsr10test_utilsE35device_test_enabled_for_warp_size_vIXT2_EEEvE4typeEPT_PT0_S5_
                                        ; -- End function
	.section	.AMDGPU.csdata,"",@progbits
; Kernel info:
; codeLenInByte = 736
; NumSgprs: 18
; NumVgprs: 9
; ScratchSize: 0
; MemoryBound: 0
; FloatMode: 240
; IeeeMode: 1
; LDSByteSize: 0 bytes/workgroup (compile time only)
; SGPRBlocks: 2
; VGPRBlocks: 1
; NumSGPRsForWavesPerEU: 18
; NumVGPRsForWavesPerEU: 9
; Occupancy: 16
; WaveLimiterHint : 0
; COMPUTE_PGM_RSRC2:SCRATCH_EN: 0
; COMPUTE_PGM_RSRC2:USER_SGPR: 15
; COMPUTE_PGM_RSRC2:TRAP_HANDLER: 0
; COMPUTE_PGM_RSRC2:TGID_X_EN: 1
; COMPUTE_PGM_RSRC2:TGID_Y_EN: 0
; COMPUTE_PGM_RSRC2:TGID_Z_EN: 0
; COMPUTE_PGM_RSRC2:TIDIG_COMP_CNT: 0
	.section	.text._Z33tail_segmented_warp_reduce_kernelI12hip_bfloat16hLj64ELj8EENSt9enable_ifIXsr10test_utilsE35device_test_enabled_for_warp_size_vIXT2_EEEvE4typeEPT_PT0_S5_,"axG",@progbits,_Z33tail_segmented_warp_reduce_kernelI12hip_bfloat16hLj64ELj8EENSt9enable_ifIXsr10test_utilsE35device_test_enabled_for_warp_size_vIXT2_EEEvE4typeEPT_PT0_S5_,comdat
	.protected	_Z33tail_segmented_warp_reduce_kernelI12hip_bfloat16hLj64ELj8EENSt9enable_ifIXsr10test_utilsE35device_test_enabled_for_warp_size_vIXT2_EEEvE4typeEPT_PT0_S5_ ; -- Begin function _Z33tail_segmented_warp_reduce_kernelI12hip_bfloat16hLj64ELj8EENSt9enable_ifIXsr10test_utilsE35device_test_enabled_for_warp_size_vIXT2_EEEvE4typeEPT_PT0_S5_
	.globl	_Z33tail_segmented_warp_reduce_kernelI12hip_bfloat16hLj64ELj8EENSt9enable_ifIXsr10test_utilsE35device_test_enabled_for_warp_size_vIXT2_EEEvE4typeEPT_PT0_S5_
	.p2align	8
	.type	_Z33tail_segmented_warp_reduce_kernelI12hip_bfloat16hLj64ELj8EENSt9enable_ifIXsr10test_utilsE35device_test_enabled_for_warp_size_vIXT2_EEEvE4typeEPT_PT0_S5_,@function
_Z33tail_segmented_warp_reduce_kernelI12hip_bfloat16hLj64ELj8EENSt9enable_ifIXsr10test_utilsE35device_test_enabled_for_warp_size_vIXT2_EEEvE4typeEPT_PT0_S5_: ; @_Z33tail_segmented_warp_reduce_kernelI12hip_bfloat16hLj64ELj8EENSt9enable_ifIXsr10test_utilsE35device_test_enabled_for_warp_size_vIXT2_EEEvE4typeEPT_PT0_S5_
; %bb.0:
	s_clause 0x1
	s_load_b32 s2, s[0:1], 0x24
	s_load_b128 s[4:7], s[0:1], 0x0
	s_waitcnt lgkmcnt(0)
	s_and_b32 s2, s2, 0xffff
	s_delay_alu instid0(SALU_CYCLE_1) | instskip(SKIP_2) | instid1(VALU_DEP_1)
	v_mad_u64_u32 v[2:3], null, s15, s2, v[0:1]
	v_mov_b32_e32 v3, 0
	s_load_b64 s[2:3], s[0:1], 0x10
	v_lshlrev_b64 v[0:1], 1, v[2:3]
	global_load_u8 v4, v2, s[6:7]
	v_add_co_u32 v2, vcc_lo, s4, v0
	v_add_co_ci_u32_e32 v3, vcc_lo, s5, v1, vcc_lo
	global_load_u16 v5, v[2:3], off
	v_mbcnt_lo_u32_b32 v2, -1, 0
	s_delay_alu instid0(VALU_DEP_1) | instskip(SKIP_2) | instid1(VALU_DEP_3)
	v_and_b32_e32 v3, 7, v2
	v_lshlrev_b32_e64 v6, v2, -1
	v_and_b32_e32 v7, 24, v2
	v_cmp_ne_u32_e64 s0, 7, v3
	s_waitcnt vmcnt(1)
	v_cmp_ne_u16_e32 vcc_lo, 0, v4
	s_delay_alu instid0(VALU_DEP_2) | instskip(SKIP_2) | instid1(VALU_DEP_2)
	v_add_co_ci_u32_e64 v4, s0, 0, v2, s0
	s_mov_b32 s0, exec_lo
	v_and_b32_e32 v8, vcc_lo, v6
	v_lshlrev_b32_e32 v4, 2, v4
	s_delay_alu instid0(VALU_DEP_2) | instskip(SKIP_4) | instid1(VALU_DEP_1)
	v_lshrrev_b32_e32 v8, v7, v8
	s_waitcnt vmcnt(0)
	v_and_b32_e32 v6, 0xffff, v5
	ds_bpermute_b32 v7, v4, v6
	v_or_b32_e32 v4, 0x80, v8
	v_ctz_i32_b32_e32 v4, v4
	s_delay_alu instid0(VALU_DEP_1)
	v_cmpx_lt_u32_e64 v3, v4
	s_cbranch_execz .LBB216_6
; %bb.1:
	v_lshlrev_b32_e32 v5, 16, v6
	s_waitcnt lgkmcnt(0)
	v_lshlrev_b32_e32 v6, 16, v7
	s_delay_alu instid0(VALU_DEP_1) | instskip(NEXT) | instid1(VALU_DEP_1)
	v_add_f32_e32 v5, v5, v6
	v_and_b32_e32 v6, 0x7f800000, v5
	s_delay_alu instid0(VALU_DEP_1) | instskip(SKIP_1) | instid1(SALU_CYCLE_1)
	v_cmp_ne_u32_e32 vcc_lo, 0x7f800000, v6
                                        ; implicit-def: $vgpr6
	s_and_saveexec_b32 s1, vcc_lo
	s_xor_b32 s1, exec_lo, s1
; %bb.2:
	v_bfe_u32 v6, v5, 16, 1
	s_delay_alu instid0(VALU_DEP_1)
	v_add3_u32 v6, v5, v6, 0x7fff
                                        ; implicit-def: $vgpr5
; %bb.3:
	s_and_not1_saveexec_b32 s1, s1
; %bb.4:
	v_and_b32_e32 v6, 0xffff, v5
	v_or_b32_e32 v7, 0x10000, v5
	s_delay_alu instid0(VALU_DEP_2) | instskip(NEXT) | instid1(VALU_DEP_2)
	v_cmp_eq_u32_e32 vcc_lo, 0, v6
	v_cndmask_b32_e32 v6, v7, v5, vcc_lo
; %bb.5:
	s_or_b32 exec_lo, exec_lo, s1
	s_delay_alu instid0(VALU_DEP_1) | instskip(NEXT) | instid1(VALU_DEP_1)
	v_lshrrev_b32_e32 v6, 16, v6
	v_mov_b32_e32 v5, v6
.LBB216_6:
	s_or_b32 exec_lo, exec_lo, s0
	v_cmp_gt_u32_e32 vcc_lo, 6, v3
	v_add_nc_u32_e32 v8, 2, v3
	s_mov_b32 s0, exec_lo
	s_waitcnt lgkmcnt(0)
	v_cndmask_b32_e64 v7, 0, 1, vcc_lo
	s_delay_alu instid0(VALU_DEP_1) | instskip(NEXT) | instid1(VALU_DEP_1)
	v_lshlrev_b32_e32 v7, 1, v7
	v_add_lshl_u32 v7, v7, v2, 2
	ds_bpermute_b32 v7, v7, v6
	v_cmpx_le_u32_e64 v8, v4
	s_cbranch_execz .LBB216_12
; %bb.7:
	v_lshlrev_b32_e32 v5, 16, v6
	s_waitcnt lgkmcnt(0)
	v_lshlrev_b32_e32 v6, 16, v7
	s_delay_alu instid0(VALU_DEP_1) | instskip(NEXT) | instid1(VALU_DEP_1)
	v_add_f32_e32 v5, v5, v6
	v_and_b32_e32 v6, 0x7f800000, v5
	s_delay_alu instid0(VALU_DEP_1) | instskip(SKIP_1) | instid1(SALU_CYCLE_1)
	v_cmp_ne_u32_e32 vcc_lo, 0x7f800000, v6
                                        ; implicit-def: $vgpr6
	s_and_saveexec_b32 s1, vcc_lo
	s_xor_b32 s1, exec_lo, s1
; %bb.8:
	v_bfe_u32 v6, v5, 16, 1
	s_delay_alu instid0(VALU_DEP_1)
	v_add3_u32 v6, v5, v6, 0x7fff
                                        ; implicit-def: $vgpr5
; %bb.9:
	s_and_not1_saveexec_b32 s1, s1
; %bb.10:
	v_and_b32_e32 v6, 0xffff, v5
	v_or_b32_e32 v7, 0x10000, v5
	s_delay_alu instid0(VALU_DEP_2) | instskip(NEXT) | instid1(VALU_DEP_2)
	v_cmp_eq_u32_e32 vcc_lo, 0, v6
	v_cndmask_b32_e32 v6, v7, v5, vcc_lo
; %bb.11:
	s_or_b32 exec_lo, exec_lo, s1
	s_delay_alu instid0(VALU_DEP_1) | instskip(NEXT) | instid1(VALU_DEP_1)
	v_lshrrev_b32_e32 v6, 16, v6
	v_mov_b32_e32 v5, v6
.LBB216_12:
	s_or_b32 exec_lo, exec_lo, s0
	v_cmp_gt_u32_e32 vcc_lo, 4, v3
	v_add_nc_u32_e32 v3, 4, v3
	s_mov_b32 s0, exec_lo
	s_waitcnt lgkmcnt(0)
	v_cndmask_b32_e64 v7, 0, 1, vcc_lo
	s_delay_alu instid0(VALU_DEP_1) | instskip(NEXT) | instid1(VALU_DEP_1)
	v_lshlrev_b32_e32 v7, 2, v7
	v_add_lshl_u32 v2, v7, v2, 2
	ds_bpermute_b32 v2, v2, v6
	v_cmpx_le_u32_e64 v3, v4
	s_cbranch_execz .LBB216_18
; %bb.13:
	v_lshlrev_b32_e32 v3, 16, v6
	s_waitcnt lgkmcnt(0)
	v_lshlrev_b32_e32 v2, 16, v2
	s_delay_alu instid0(VALU_DEP_1) | instskip(NEXT) | instid1(VALU_DEP_1)
	v_add_f32_e32 v2, v3, v2
	v_and_b32_e32 v3, 0x7f800000, v2
	s_delay_alu instid0(VALU_DEP_1) | instskip(SKIP_1) | instid1(SALU_CYCLE_1)
	v_cmp_ne_u32_e32 vcc_lo, 0x7f800000, v3
                                        ; implicit-def: $vgpr3
	s_and_saveexec_b32 s1, vcc_lo
	s_xor_b32 s1, exec_lo, s1
; %bb.14:
	v_bfe_u32 v3, v2, 16, 1
	s_delay_alu instid0(VALU_DEP_1)
	v_add3_u32 v3, v2, v3, 0x7fff
                                        ; implicit-def: $vgpr2
; %bb.15:
	s_and_not1_saveexec_b32 s1, s1
; %bb.16:
	v_and_b32_e32 v3, 0xffff, v2
	v_or_b32_e32 v4, 0x10000, v2
	s_delay_alu instid0(VALU_DEP_2) | instskip(NEXT) | instid1(VALU_DEP_2)
	v_cmp_eq_u32_e32 vcc_lo, 0, v3
	v_cndmask_b32_e32 v3, v4, v2, vcc_lo
; %bb.17:
	s_or_b32 exec_lo, exec_lo, s1
	s_delay_alu instid0(VALU_DEP_1)
	v_lshrrev_b32_e32 v5, 16, v3
.LBB216_18:
	s_or_b32 exec_lo, exec_lo, s0
	v_add_co_u32 v0, vcc_lo, s2, v0
	v_add_co_ci_u32_e32 v1, vcc_lo, s3, v1, vcc_lo
	global_store_b16 v[0:1], v5, off
	s_nop 0
	s_sendmsg sendmsg(MSG_DEALLOC_VGPRS)
	s_endpgm
	.section	.rodata,"a",@progbits
	.p2align	6, 0x0
	.amdhsa_kernel _Z33tail_segmented_warp_reduce_kernelI12hip_bfloat16hLj64ELj8EENSt9enable_ifIXsr10test_utilsE35device_test_enabled_for_warp_size_vIXT2_EEEvE4typeEPT_PT0_S5_
		.amdhsa_group_segment_fixed_size 0
		.amdhsa_private_segment_fixed_size 0
		.amdhsa_kernarg_size 280
		.amdhsa_user_sgpr_count 15
		.amdhsa_user_sgpr_dispatch_ptr 0
		.amdhsa_user_sgpr_queue_ptr 0
		.amdhsa_user_sgpr_kernarg_segment_ptr 1
		.amdhsa_user_sgpr_dispatch_id 0
		.amdhsa_user_sgpr_private_segment_size 0
		.amdhsa_wavefront_size32 1
		.amdhsa_uses_dynamic_stack 0
		.amdhsa_enable_private_segment 0
		.amdhsa_system_sgpr_workgroup_id_x 1
		.amdhsa_system_sgpr_workgroup_id_y 0
		.amdhsa_system_sgpr_workgroup_id_z 0
		.amdhsa_system_sgpr_workgroup_info 0
		.amdhsa_system_vgpr_workitem_id 0
		.amdhsa_next_free_vgpr 9
		.amdhsa_next_free_sgpr 16
		.amdhsa_reserve_vcc 1
		.amdhsa_float_round_mode_32 0
		.amdhsa_float_round_mode_16_64 0
		.amdhsa_float_denorm_mode_32 3
		.amdhsa_float_denorm_mode_16_64 3
		.amdhsa_dx10_clamp 1
		.amdhsa_ieee_mode 1
		.amdhsa_fp16_overflow 0
		.amdhsa_workgroup_processor_mode 1
		.amdhsa_memory_ordered 1
		.amdhsa_forward_progress 0
		.amdhsa_shared_vgpr_count 0
		.amdhsa_exception_fp_ieee_invalid_op 0
		.amdhsa_exception_fp_denorm_src 0
		.amdhsa_exception_fp_ieee_div_zero 0
		.amdhsa_exception_fp_ieee_overflow 0
		.amdhsa_exception_fp_ieee_underflow 0
		.amdhsa_exception_fp_ieee_inexact 0
		.amdhsa_exception_int_div_zero 0
	.end_amdhsa_kernel
	.section	.text._Z33tail_segmented_warp_reduce_kernelI12hip_bfloat16hLj64ELj8EENSt9enable_ifIXsr10test_utilsE35device_test_enabled_for_warp_size_vIXT2_EEEvE4typeEPT_PT0_S5_,"axG",@progbits,_Z33tail_segmented_warp_reduce_kernelI12hip_bfloat16hLj64ELj8EENSt9enable_ifIXsr10test_utilsE35device_test_enabled_for_warp_size_vIXT2_EEEvE4typeEPT_PT0_S5_,comdat
.Lfunc_end216:
	.size	_Z33tail_segmented_warp_reduce_kernelI12hip_bfloat16hLj64ELj8EENSt9enable_ifIXsr10test_utilsE35device_test_enabled_for_warp_size_vIXT2_EEEvE4typeEPT_PT0_S5_, .Lfunc_end216-_Z33tail_segmented_warp_reduce_kernelI12hip_bfloat16hLj64ELj8EENSt9enable_ifIXsr10test_utilsE35device_test_enabled_for_warp_size_vIXT2_EEEvE4typeEPT_PT0_S5_
                                        ; -- End function
	.section	.AMDGPU.csdata,"",@progbits
; Kernel info:
; codeLenInByte = 736
; NumSgprs: 18
; NumVgprs: 9
; ScratchSize: 0
; MemoryBound: 0
; FloatMode: 240
; IeeeMode: 1
; LDSByteSize: 0 bytes/workgroup (compile time only)
; SGPRBlocks: 2
; VGPRBlocks: 1
; NumSGPRsForWavesPerEU: 18
; NumVGPRsForWavesPerEU: 9
; Occupancy: 16
; WaveLimiterHint : 0
; COMPUTE_PGM_RSRC2:SCRATCH_EN: 0
; COMPUTE_PGM_RSRC2:USER_SGPR: 15
; COMPUTE_PGM_RSRC2:TRAP_HANDLER: 0
; COMPUTE_PGM_RSRC2:TGID_X_EN: 1
; COMPUTE_PGM_RSRC2:TGID_Y_EN: 0
; COMPUTE_PGM_RSRC2:TGID_Z_EN: 0
; COMPUTE_PGM_RSRC2:TIDIG_COMP_CNT: 0
	.section	.text._Z33tail_segmented_warp_reduce_kernelI12hip_bfloat16hLj32ELj4EENSt9enable_ifIXsr10test_utilsE35device_test_enabled_for_warp_size_vIXT2_EEEvE4typeEPT_PT0_S5_,"axG",@progbits,_Z33tail_segmented_warp_reduce_kernelI12hip_bfloat16hLj32ELj4EENSt9enable_ifIXsr10test_utilsE35device_test_enabled_for_warp_size_vIXT2_EEEvE4typeEPT_PT0_S5_,comdat
	.protected	_Z33tail_segmented_warp_reduce_kernelI12hip_bfloat16hLj32ELj4EENSt9enable_ifIXsr10test_utilsE35device_test_enabled_for_warp_size_vIXT2_EEEvE4typeEPT_PT0_S5_ ; -- Begin function _Z33tail_segmented_warp_reduce_kernelI12hip_bfloat16hLj32ELj4EENSt9enable_ifIXsr10test_utilsE35device_test_enabled_for_warp_size_vIXT2_EEEvE4typeEPT_PT0_S5_
	.globl	_Z33tail_segmented_warp_reduce_kernelI12hip_bfloat16hLj32ELj4EENSt9enable_ifIXsr10test_utilsE35device_test_enabled_for_warp_size_vIXT2_EEEvE4typeEPT_PT0_S5_
	.p2align	8
	.type	_Z33tail_segmented_warp_reduce_kernelI12hip_bfloat16hLj32ELj4EENSt9enable_ifIXsr10test_utilsE35device_test_enabled_for_warp_size_vIXT2_EEEvE4typeEPT_PT0_S5_,@function
_Z33tail_segmented_warp_reduce_kernelI12hip_bfloat16hLj32ELj4EENSt9enable_ifIXsr10test_utilsE35device_test_enabled_for_warp_size_vIXT2_EEEvE4typeEPT_PT0_S5_: ; @_Z33tail_segmented_warp_reduce_kernelI12hip_bfloat16hLj32ELj4EENSt9enable_ifIXsr10test_utilsE35device_test_enabled_for_warp_size_vIXT2_EEEvE4typeEPT_PT0_S5_
; %bb.0:
	s_clause 0x1
	s_load_b32 s2, s[0:1], 0x24
	s_load_b128 s[4:7], s[0:1], 0x0
	s_waitcnt lgkmcnt(0)
	s_and_b32 s2, s2, 0xffff
	s_delay_alu instid0(SALU_CYCLE_1) | instskip(SKIP_2) | instid1(VALU_DEP_1)
	v_mad_u64_u32 v[2:3], null, s15, s2, v[0:1]
	v_mov_b32_e32 v3, 0
	s_load_b64 s[2:3], s[0:1], 0x10
	v_lshlrev_b64 v[0:1], 1, v[2:3]
	global_load_u8 v5, v2, s[6:7]
	v_add_co_u32 v2, vcc_lo, s4, v0
	v_add_co_ci_u32_e32 v3, vcc_lo, s5, v1, vcc_lo
	global_load_u16 v4, v[2:3], off
	v_mbcnt_lo_u32_b32 v2, -1, 0
	s_delay_alu instid0(VALU_DEP_1) | instskip(SKIP_2) | instid1(VALU_DEP_3)
	v_and_b32_e32 v3, 3, v2
	v_lshlrev_b32_e64 v6, v2, -1
	v_and_b32_e32 v7, 28, v2
	v_cmp_ne_u32_e64 s0, 3, v3
	s_waitcnt vmcnt(1)
	v_cmp_ne_u16_e32 vcc_lo, 0, v5
	s_delay_alu instid0(VALU_DEP_2) | instskip(SKIP_2) | instid1(VALU_DEP_2)
	v_add_co_ci_u32_e64 v5, s0, 0, v2, s0
	s_mov_b32 s0, exec_lo
	v_and_b32_e32 v8, vcc_lo, v6
	v_lshlrev_b32_e32 v5, 2, v5
	s_delay_alu instid0(VALU_DEP_2) | instskip(SKIP_4) | instid1(VALU_DEP_1)
	v_lshrrev_b32_e32 v8, v7, v8
	s_waitcnt vmcnt(0)
	v_and_b32_e32 v6, 0xffff, v4
	ds_bpermute_b32 v7, v5, v6
	v_or_b32_e32 v5, 8, v8
	v_ctz_i32_b32_e32 v5, v5
	s_delay_alu instid0(VALU_DEP_1)
	v_cmpx_lt_u32_e64 v3, v5
	s_cbranch_execz .LBB217_6
; %bb.1:
	v_lshlrev_b32_e32 v4, 16, v6
	s_waitcnt lgkmcnt(0)
	v_lshlrev_b32_e32 v6, 16, v7
	s_delay_alu instid0(VALU_DEP_1) | instskip(NEXT) | instid1(VALU_DEP_1)
	v_add_f32_e32 v4, v4, v6
	v_and_b32_e32 v6, 0x7f800000, v4
	s_delay_alu instid0(VALU_DEP_1) | instskip(SKIP_1) | instid1(SALU_CYCLE_1)
	v_cmp_ne_u32_e32 vcc_lo, 0x7f800000, v6
                                        ; implicit-def: $vgpr6
	s_and_saveexec_b32 s1, vcc_lo
	s_xor_b32 s1, exec_lo, s1
; %bb.2:
	v_bfe_u32 v6, v4, 16, 1
	s_delay_alu instid0(VALU_DEP_1)
	v_add3_u32 v6, v4, v6, 0x7fff
                                        ; implicit-def: $vgpr4
; %bb.3:
	s_and_not1_saveexec_b32 s1, s1
; %bb.4:
	v_and_b32_e32 v6, 0xffff, v4
	v_or_b32_e32 v7, 0x10000, v4
	s_delay_alu instid0(VALU_DEP_2) | instskip(NEXT) | instid1(VALU_DEP_2)
	v_cmp_eq_u32_e32 vcc_lo, 0, v6
	v_cndmask_b32_e32 v6, v7, v4, vcc_lo
; %bb.5:
	s_or_b32 exec_lo, exec_lo, s1
	s_delay_alu instid0(VALU_DEP_1) | instskip(NEXT) | instid1(VALU_DEP_1)
	v_lshrrev_b32_e32 v6, 16, v6
	v_mov_b32_e32 v4, v6
.LBB217_6:
	s_or_b32 exec_lo, exec_lo, s0
	v_cmp_gt_u32_e32 vcc_lo, 2, v3
	v_add_nc_u32_e32 v3, 2, v3
	s_mov_b32 s0, exec_lo
	s_waitcnt lgkmcnt(0)
	v_cndmask_b32_e64 v7, 0, 1, vcc_lo
	s_delay_alu instid0(VALU_DEP_1) | instskip(NEXT) | instid1(VALU_DEP_1)
	v_lshlrev_b32_e32 v7, 1, v7
	v_add_lshl_u32 v2, v7, v2, 2
	ds_bpermute_b32 v2, v2, v6
	v_cmpx_le_u32_e64 v3, v5
	s_cbranch_execz .LBB217_12
; %bb.7:
	v_lshlrev_b32_e32 v3, 16, v6
	s_waitcnt lgkmcnt(0)
	v_lshlrev_b32_e32 v2, 16, v2
	s_delay_alu instid0(VALU_DEP_1) | instskip(NEXT) | instid1(VALU_DEP_1)
	v_add_f32_e32 v2, v3, v2
	v_and_b32_e32 v3, 0x7f800000, v2
	s_delay_alu instid0(VALU_DEP_1) | instskip(SKIP_1) | instid1(SALU_CYCLE_1)
	v_cmp_ne_u32_e32 vcc_lo, 0x7f800000, v3
                                        ; implicit-def: $vgpr3
	s_and_saveexec_b32 s1, vcc_lo
	s_xor_b32 s1, exec_lo, s1
; %bb.8:
	v_bfe_u32 v3, v2, 16, 1
	s_delay_alu instid0(VALU_DEP_1)
	v_add3_u32 v3, v2, v3, 0x7fff
                                        ; implicit-def: $vgpr2
; %bb.9:
	s_and_not1_saveexec_b32 s1, s1
; %bb.10:
	v_and_b32_e32 v3, 0xffff, v2
	v_or_b32_e32 v4, 0x10000, v2
	s_delay_alu instid0(VALU_DEP_2) | instskip(NEXT) | instid1(VALU_DEP_2)
	v_cmp_eq_u32_e32 vcc_lo, 0, v3
	v_cndmask_b32_e32 v3, v4, v2, vcc_lo
; %bb.11:
	s_or_b32 exec_lo, exec_lo, s1
	s_delay_alu instid0(VALU_DEP_1)
	v_lshrrev_b32_e32 v4, 16, v3
.LBB217_12:
	s_or_b32 exec_lo, exec_lo, s0
	v_add_co_u32 v0, vcc_lo, s2, v0
	v_add_co_ci_u32_e32 v1, vcc_lo, s3, v1, vcc_lo
	global_store_b16 v[0:1], v4, off
	s_nop 0
	s_sendmsg sendmsg(MSG_DEALLOC_VGPRS)
	s_endpgm
	.section	.rodata,"a",@progbits
	.p2align	6, 0x0
	.amdhsa_kernel _Z33tail_segmented_warp_reduce_kernelI12hip_bfloat16hLj32ELj4EENSt9enable_ifIXsr10test_utilsE35device_test_enabled_for_warp_size_vIXT2_EEEvE4typeEPT_PT0_S5_
		.amdhsa_group_segment_fixed_size 0
		.amdhsa_private_segment_fixed_size 0
		.amdhsa_kernarg_size 280
		.amdhsa_user_sgpr_count 15
		.amdhsa_user_sgpr_dispatch_ptr 0
		.amdhsa_user_sgpr_queue_ptr 0
		.amdhsa_user_sgpr_kernarg_segment_ptr 1
		.amdhsa_user_sgpr_dispatch_id 0
		.amdhsa_user_sgpr_private_segment_size 0
		.amdhsa_wavefront_size32 1
		.amdhsa_uses_dynamic_stack 0
		.amdhsa_enable_private_segment 0
		.amdhsa_system_sgpr_workgroup_id_x 1
		.amdhsa_system_sgpr_workgroup_id_y 0
		.amdhsa_system_sgpr_workgroup_id_z 0
		.amdhsa_system_sgpr_workgroup_info 0
		.amdhsa_system_vgpr_workitem_id 0
		.amdhsa_next_free_vgpr 9
		.amdhsa_next_free_sgpr 16
		.amdhsa_reserve_vcc 1
		.amdhsa_float_round_mode_32 0
		.amdhsa_float_round_mode_16_64 0
		.amdhsa_float_denorm_mode_32 3
		.amdhsa_float_denorm_mode_16_64 3
		.amdhsa_dx10_clamp 1
		.amdhsa_ieee_mode 1
		.amdhsa_fp16_overflow 0
		.amdhsa_workgroup_processor_mode 1
		.amdhsa_memory_ordered 1
		.amdhsa_forward_progress 0
		.amdhsa_shared_vgpr_count 0
		.amdhsa_exception_fp_ieee_invalid_op 0
		.amdhsa_exception_fp_denorm_src 0
		.amdhsa_exception_fp_ieee_div_zero 0
		.amdhsa_exception_fp_ieee_overflow 0
		.amdhsa_exception_fp_ieee_underflow 0
		.amdhsa_exception_fp_ieee_inexact 0
		.amdhsa_exception_int_div_zero 0
	.end_amdhsa_kernel
	.section	.text._Z33tail_segmented_warp_reduce_kernelI12hip_bfloat16hLj32ELj4EENSt9enable_ifIXsr10test_utilsE35device_test_enabled_for_warp_size_vIXT2_EEEvE4typeEPT_PT0_S5_,"axG",@progbits,_Z33tail_segmented_warp_reduce_kernelI12hip_bfloat16hLj32ELj4EENSt9enable_ifIXsr10test_utilsE35device_test_enabled_for_warp_size_vIXT2_EEEvE4typeEPT_PT0_S5_,comdat
.Lfunc_end217:
	.size	_Z33tail_segmented_warp_reduce_kernelI12hip_bfloat16hLj32ELj4EENSt9enable_ifIXsr10test_utilsE35device_test_enabled_for_warp_size_vIXT2_EEEvE4typeEPT_PT0_S5_, .Lfunc_end217-_Z33tail_segmented_warp_reduce_kernelI12hip_bfloat16hLj32ELj4EENSt9enable_ifIXsr10test_utilsE35device_test_enabled_for_warp_size_vIXT2_EEEvE4typeEPT_PT0_S5_
                                        ; -- End function
	.section	.AMDGPU.csdata,"",@progbits
; Kernel info:
; codeLenInByte = 548
; NumSgprs: 18
; NumVgprs: 9
; ScratchSize: 0
; MemoryBound: 0
; FloatMode: 240
; IeeeMode: 1
; LDSByteSize: 0 bytes/workgroup (compile time only)
; SGPRBlocks: 2
; VGPRBlocks: 1
; NumSGPRsForWavesPerEU: 18
; NumVGPRsForWavesPerEU: 9
; Occupancy: 16
; WaveLimiterHint : 0
; COMPUTE_PGM_RSRC2:SCRATCH_EN: 0
; COMPUTE_PGM_RSRC2:USER_SGPR: 15
; COMPUTE_PGM_RSRC2:TRAP_HANDLER: 0
; COMPUTE_PGM_RSRC2:TGID_X_EN: 1
; COMPUTE_PGM_RSRC2:TGID_Y_EN: 0
; COMPUTE_PGM_RSRC2:TGID_Z_EN: 0
; COMPUTE_PGM_RSRC2:TIDIG_COMP_CNT: 0
	.section	.text._Z33tail_segmented_warp_reduce_kernelI12hip_bfloat16hLj64ELj4EENSt9enable_ifIXsr10test_utilsE35device_test_enabled_for_warp_size_vIXT2_EEEvE4typeEPT_PT0_S5_,"axG",@progbits,_Z33tail_segmented_warp_reduce_kernelI12hip_bfloat16hLj64ELj4EENSt9enable_ifIXsr10test_utilsE35device_test_enabled_for_warp_size_vIXT2_EEEvE4typeEPT_PT0_S5_,comdat
	.protected	_Z33tail_segmented_warp_reduce_kernelI12hip_bfloat16hLj64ELj4EENSt9enable_ifIXsr10test_utilsE35device_test_enabled_for_warp_size_vIXT2_EEEvE4typeEPT_PT0_S5_ ; -- Begin function _Z33tail_segmented_warp_reduce_kernelI12hip_bfloat16hLj64ELj4EENSt9enable_ifIXsr10test_utilsE35device_test_enabled_for_warp_size_vIXT2_EEEvE4typeEPT_PT0_S5_
	.globl	_Z33tail_segmented_warp_reduce_kernelI12hip_bfloat16hLj64ELj4EENSt9enable_ifIXsr10test_utilsE35device_test_enabled_for_warp_size_vIXT2_EEEvE4typeEPT_PT0_S5_
	.p2align	8
	.type	_Z33tail_segmented_warp_reduce_kernelI12hip_bfloat16hLj64ELj4EENSt9enable_ifIXsr10test_utilsE35device_test_enabled_for_warp_size_vIXT2_EEEvE4typeEPT_PT0_S5_,@function
_Z33tail_segmented_warp_reduce_kernelI12hip_bfloat16hLj64ELj4EENSt9enable_ifIXsr10test_utilsE35device_test_enabled_for_warp_size_vIXT2_EEEvE4typeEPT_PT0_S5_: ; @_Z33tail_segmented_warp_reduce_kernelI12hip_bfloat16hLj64ELj4EENSt9enable_ifIXsr10test_utilsE35device_test_enabled_for_warp_size_vIXT2_EEEvE4typeEPT_PT0_S5_
; %bb.0:
	s_clause 0x1
	s_load_b32 s2, s[0:1], 0x24
	s_load_b128 s[4:7], s[0:1], 0x0
	s_waitcnt lgkmcnt(0)
	s_and_b32 s2, s2, 0xffff
	s_delay_alu instid0(SALU_CYCLE_1) | instskip(SKIP_2) | instid1(VALU_DEP_1)
	v_mad_u64_u32 v[2:3], null, s15, s2, v[0:1]
	v_mov_b32_e32 v3, 0
	s_load_b64 s[2:3], s[0:1], 0x10
	v_lshlrev_b64 v[0:1], 1, v[2:3]
	global_load_u8 v5, v2, s[6:7]
	v_add_co_u32 v2, vcc_lo, s4, v0
	v_add_co_ci_u32_e32 v3, vcc_lo, s5, v1, vcc_lo
	global_load_u16 v4, v[2:3], off
	v_mbcnt_lo_u32_b32 v2, -1, 0
	s_delay_alu instid0(VALU_DEP_1) | instskip(SKIP_2) | instid1(VALU_DEP_3)
	v_and_b32_e32 v3, 3, v2
	v_lshlrev_b32_e64 v6, v2, -1
	v_and_b32_e32 v7, 28, v2
	v_cmp_ne_u32_e64 s0, 3, v3
	s_waitcnt vmcnt(1)
	v_cmp_ne_u16_e32 vcc_lo, 0, v5
	s_delay_alu instid0(VALU_DEP_2) | instskip(SKIP_2) | instid1(VALU_DEP_2)
	v_add_co_ci_u32_e64 v5, s0, 0, v2, s0
	s_mov_b32 s0, exec_lo
	v_and_b32_e32 v8, vcc_lo, v6
	v_lshlrev_b32_e32 v5, 2, v5
	s_delay_alu instid0(VALU_DEP_2) | instskip(SKIP_4) | instid1(VALU_DEP_1)
	v_lshrrev_b32_e32 v8, v7, v8
	s_waitcnt vmcnt(0)
	v_and_b32_e32 v6, 0xffff, v4
	ds_bpermute_b32 v7, v5, v6
	v_or_b32_e32 v5, 8, v8
	v_ctz_i32_b32_e32 v5, v5
	s_delay_alu instid0(VALU_DEP_1)
	v_cmpx_lt_u32_e64 v3, v5
	s_cbranch_execz .LBB218_6
; %bb.1:
	v_lshlrev_b32_e32 v4, 16, v6
	s_waitcnt lgkmcnt(0)
	v_lshlrev_b32_e32 v6, 16, v7
	s_delay_alu instid0(VALU_DEP_1) | instskip(NEXT) | instid1(VALU_DEP_1)
	v_add_f32_e32 v4, v4, v6
	v_and_b32_e32 v6, 0x7f800000, v4
	s_delay_alu instid0(VALU_DEP_1) | instskip(SKIP_1) | instid1(SALU_CYCLE_1)
	v_cmp_ne_u32_e32 vcc_lo, 0x7f800000, v6
                                        ; implicit-def: $vgpr6
	s_and_saveexec_b32 s1, vcc_lo
	s_xor_b32 s1, exec_lo, s1
; %bb.2:
	v_bfe_u32 v6, v4, 16, 1
	s_delay_alu instid0(VALU_DEP_1)
	v_add3_u32 v6, v4, v6, 0x7fff
                                        ; implicit-def: $vgpr4
; %bb.3:
	s_and_not1_saveexec_b32 s1, s1
; %bb.4:
	v_and_b32_e32 v6, 0xffff, v4
	v_or_b32_e32 v7, 0x10000, v4
	s_delay_alu instid0(VALU_DEP_2) | instskip(NEXT) | instid1(VALU_DEP_2)
	v_cmp_eq_u32_e32 vcc_lo, 0, v6
	v_cndmask_b32_e32 v6, v7, v4, vcc_lo
; %bb.5:
	s_or_b32 exec_lo, exec_lo, s1
	s_delay_alu instid0(VALU_DEP_1) | instskip(NEXT) | instid1(VALU_DEP_1)
	v_lshrrev_b32_e32 v6, 16, v6
	v_mov_b32_e32 v4, v6
.LBB218_6:
	s_or_b32 exec_lo, exec_lo, s0
	v_cmp_gt_u32_e32 vcc_lo, 2, v3
	v_add_nc_u32_e32 v3, 2, v3
	s_mov_b32 s0, exec_lo
	s_waitcnt lgkmcnt(0)
	v_cndmask_b32_e64 v7, 0, 1, vcc_lo
	s_delay_alu instid0(VALU_DEP_1) | instskip(NEXT) | instid1(VALU_DEP_1)
	v_lshlrev_b32_e32 v7, 1, v7
	v_add_lshl_u32 v2, v7, v2, 2
	ds_bpermute_b32 v2, v2, v6
	v_cmpx_le_u32_e64 v3, v5
	s_cbranch_execz .LBB218_12
; %bb.7:
	v_lshlrev_b32_e32 v3, 16, v6
	s_waitcnt lgkmcnt(0)
	v_lshlrev_b32_e32 v2, 16, v2
	s_delay_alu instid0(VALU_DEP_1) | instskip(NEXT) | instid1(VALU_DEP_1)
	v_add_f32_e32 v2, v3, v2
	v_and_b32_e32 v3, 0x7f800000, v2
	s_delay_alu instid0(VALU_DEP_1) | instskip(SKIP_1) | instid1(SALU_CYCLE_1)
	v_cmp_ne_u32_e32 vcc_lo, 0x7f800000, v3
                                        ; implicit-def: $vgpr3
	s_and_saveexec_b32 s1, vcc_lo
	s_xor_b32 s1, exec_lo, s1
; %bb.8:
	v_bfe_u32 v3, v2, 16, 1
	s_delay_alu instid0(VALU_DEP_1)
	v_add3_u32 v3, v2, v3, 0x7fff
                                        ; implicit-def: $vgpr2
; %bb.9:
	s_and_not1_saveexec_b32 s1, s1
; %bb.10:
	v_and_b32_e32 v3, 0xffff, v2
	v_or_b32_e32 v4, 0x10000, v2
	s_delay_alu instid0(VALU_DEP_2) | instskip(NEXT) | instid1(VALU_DEP_2)
	v_cmp_eq_u32_e32 vcc_lo, 0, v3
	v_cndmask_b32_e32 v3, v4, v2, vcc_lo
; %bb.11:
	s_or_b32 exec_lo, exec_lo, s1
	s_delay_alu instid0(VALU_DEP_1)
	v_lshrrev_b32_e32 v4, 16, v3
.LBB218_12:
	s_or_b32 exec_lo, exec_lo, s0
	v_add_co_u32 v0, vcc_lo, s2, v0
	v_add_co_ci_u32_e32 v1, vcc_lo, s3, v1, vcc_lo
	global_store_b16 v[0:1], v4, off
	s_nop 0
	s_sendmsg sendmsg(MSG_DEALLOC_VGPRS)
	s_endpgm
	.section	.rodata,"a",@progbits
	.p2align	6, 0x0
	.amdhsa_kernel _Z33tail_segmented_warp_reduce_kernelI12hip_bfloat16hLj64ELj4EENSt9enable_ifIXsr10test_utilsE35device_test_enabled_for_warp_size_vIXT2_EEEvE4typeEPT_PT0_S5_
		.amdhsa_group_segment_fixed_size 0
		.amdhsa_private_segment_fixed_size 0
		.amdhsa_kernarg_size 280
		.amdhsa_user_sgpr_count 15
		.amdhsa_user_sgpr_dispatch_ptr 0
		.amdhsa_user_sgpr_queue_ptr 0
		.amdhsa_user_sgpr_kernarg_segment_ptr 1
		.amdhsa_user_sgpr_dispatch_id 0
		.amdhsa_user_sgpr_private_segment_size 0
		.amdhsa_wavefront_size32 1
		.amdhsa_uses_dynamic_stack 0
		.amdhsa_enable_private_segment 0
		.amdhsa_system_sgpr_workgroup_id_x 1
		.amdhsa_system_sgpr_workgroup_id_y 0
		.amdhsa_system_sgpr_workgroup_id_z 0
		.amdhsa_system_sgpr_workgroup_info 0
		.amdhsa_system_vgpr_workitem_id 0
		.amdhsa_next_free_vgpr 9
		.amdhsa_next_free_sgpr 16
		.amdhsa_reserve_vcc 1
		.amdhsa_float_round_mode_32 0
		.amdhsa_float_round_mode_16_64 0
		.amdhsa_float_denorm_mode_32 3
		.amdhsa_float_denorm_mode_16_64 3
		.amdhsa_dx10_clamp 1
		.amdhsa_ieee_mode 1
		.amdhsa_fp16_overflow 0
		.amdhsa_workgroup_processor_mode 1
		.amdhsa_memory_ordered 1
		.amdhsa_forward_progress 0
		.amdhsa_shared_vgpr_count 0
		.amdhsa_exception_fp_ieee_invalid_op 0
		.amdhsa_exception_fp_denorm_src 0
		.amdhsa_exception_fp_ieee_div_zero 0
		.amdhsa_exception_fp_ieee_overflow 0
		.amdhsa_exception_fp_ieee_underflow 0
		.amdhsa_exception_fp_ieee_inexact 0
		.amdhsa_exception_int_div_zero 0
	.end_amdhsa_kernel
	.section	.text._Z33tail_segmented_warp_reduce_kernelI12hip_bfloat16hLj64ELj4EENSt9enable_ifIXsr10test_utilsE35device_test_enabled_for_warp_size_vIXT2_EEEvE4typeEPT_PT0_S5_,"axG",@progbits,_Z33tail_segmented_warp_reduce_kernelI12hip_bfloat16hLj64ELj4EENSt9enable_ifIXsr10test_utilsE35device_test_enabled_for_warp_size_vIXT2_EEEvE4typeEPT_PT0_S5_,comdat
.Lfunc_end218:
	.size	_Z33tail_segmented_warp_reduce_kernelI12hip_bfloat16hLj64ELj4EENSt9enable_ifIXsr10test_utilsE35device_test_enabled_for_warp_size_vIXT2_EEEvE4typeEPT_PT0_S5_, .Lfunc_end218-_Z33tail_segmented_warp_reduce_kernelI12hip_bfloat16hLj64ELj4EENSt9enable_ifIXsr10test_utilsE35device_test_enabled_for_warp_size_vIXT2_EEEvE4typeEPT_PT0_S5_
                                        ; -- End function
	.section	.AMDGPU.csdata,"",@progbits
; Kernel info:
; codeLenInByte = 548
; NumSgprs: 18
; NumVgprs: 9
; ScratchSize: 0
; MemoryBound: 0
; FloatMode: 240
; IeeeMode: 1
; LDSByteSize: 0 bytes/workgroup (compile time only)
; SGPRBlocks: 2
; VGPRBlocks: 1
; NumSGPRsForWavesPerEU: 18
; NumVGPRsForWavesPerEU: 9
; Occupancy: 16
; WaveLimiterHint : 0
; COMPUTE_PGM_RSRC2:SCRATCH_EN: 0
; COMPUTE_PGM_RSRC2:USER_SGPR: 15
; COMPUTE_PGM_RSRC2:TRAP_HANDLER: 0
; COMPUTE_PGM_RSRC2:TGID_X_EN: 1
; COMPUTE_PGM_RSRC2:TGID_Y_EN: 0
; COMPUTE_PGM_RSRC2:TGID_Z_EN: 0
; COMPUTE_PGM_RSRC2:TIDIG_COMP_CNT: 0
	.section	.text._Z33tail_segmented_warp_reduce_kernelI12hip_bfloat16hLj32ELj2EENSt9enable_ifIXsr10test_utilsE35device_test_enabled_for_warp_size_vIXT2_EEEvE4typeEPT_PT0_S5_,"axG",@progbits,_Z33tail_segmented_warp_reduce_kernelI12hip_bfloat16hLj32ELj2EENSt9enable_ifIXsr10test_utilsE35device_test_enabled_for_warp_size_vIXT2_EEEvE4typeEPT_PT0_S5_,comdat
	.protected	_Z33tail_segmented_warp_reduce_kernelI12hip_bfloat16hLj32ELj2EENSt9enable_ifIXsr10test_utilsE35device_test_enabled_for_warp_size_vIXT2_EEEvE4typeEPT_PT0_S5_ ; -- Begin function _Z33tail_segmented_warp_reduce_kernelI12hip_bfloat16hLj32ELj2EENSt9enable_ifIXsr10test_utilsE35device_test_enabled_for_warp_size_vIXT2_EEEvE4typeEPT_PT0_S5_
	.globl	_Z33tail_segmented_warp_reduce_kernelI12hip_bfloat16hLj32ELj2EENSt9enable_ifIXsr10test_utilsE35device_test_enabled_for_warp_size_vIXT2_EEEvE4typeEPT_PT0_S5_
	.p2align	8
	.type	_Z33tail_segmented_warp_reduce_kernelI12hip_bfloat16hLj32ELj2EENSt9enable_ifIXsr10test_utilsE35device_test_enabled_for_warp_size_vIXT2_EEEvE4typeEPT_PT0_S5_,@function
_Z33tail_segmented_warp_reduce_kernelI12hip_bfloat16hLj32ELj2EENSt9enable_ifIXsr10test_utilsE35device_test_enabled_for_warp_size_vIXT2_EEEvE4typeEPT_PT0_S5_: ; @_Z33tail_segmented_warp_reduce_kernelI12hip_bfloat16hLj32ELj2EENSt9enable_ifIXsr10test_utilsE35device_test_enabled_for_warp_size_vIXT2_EEEvE4typeEPT_PT0_S5_
; %bb.0:
	s_clause 0x1
	s_load_b32 s2, s[0:1], 0x24
	s_load_b128 s[4:7], s[0:1], 0x0
	v_mbcnt_lo_u32_b32 v5, -1, 0
	s_load_b64 s[0:1], s[0:1], 0x10
	s_delay_alu instid0(VALU_DEP_1) | instskip(SKIP_2) | instid1(SALU_CYCLE_1)
	v_lshl_or_b32 v7, v5, 2, 4
	s_waitcnt lgkmcnt(0)
	s_and_b32 s2, s2, 0xffff
	v_mad_u64_u32 v[2:3], null, s15, s2, v[0:1]
	v_mov_b32_e32 v3, 0
	s_mov_b32 s2, exec_lo
	s_delay_alu instid0(VALU_DEP_1)
	v_lshlrev_b64 v[0:1], 1, v[2:3]
	global_load_u8 v4, v2, s[6:7]
	v_add_co_u32 v2, vcc_lo, s4, v0
	v_add_co_ci_u32_e32 v3, vcc_lo, s5, v1, vcc_lo
	global_load_u16 v2, v[2:3], off
	v_lshlrev_b32_e64 v3, v5, -1
	s_waitcnt vmcnt(1)
	v_cmp_ne_u16_e32 vcc_lo, 0, v4
	v_and_b32_e32 v4, 30, v5
	v_and_b32_e32 v5, 1, v5
	v_and_b32_e32 v6, vcc_lo, v3
	s_delay_alu instid0(VALU_DEP_1) | instskip(SKIP_2) | instid1(VALU_DEP_2)
	v_lshrrev_b32_e32 v6, v4, v6
	s_waitcnt vmcnt(0)
	v_and_b32_e32 v3, 0xffff, v2
	v_or_b32_e32 v6, 2, v6
	ds_bpermute_b32 v4, v7, v3
	v_ctz_i32_b32_e32 v6, v6
	s_delay_alu instid0(VALU_DEP_1)
	v_cmpx_lt_u32_e64 v5, v6
	s_cbranch_execz .LBB219_6
; %bb.1:
	v_lshlrev_b32_e32 v2, 16, v3
	s_waitcnt lgkmcnt(0)
	v_lshlrev_b32_e32 v3, 16, v4
	s_delay_alu instid0(VALU_DEP_1) | instskip(NEXT) | instid1(VALU_DEP_1)
	v_add_f32_e32 v2, v2, v3
	v_and_b32_e32 v3, 0x7f800000, v2
	s_delay_alu instid0(VALU_DEP_1) | instskip(SKIP_1) | instid1(SALU_CYCLE_1)
	v_cmp_ne_u32_e32 vcc_lo, 0x7f800000, v3
                                        ; implicit-def: $vgpr3
	s_and_saveexec_b32 s3, vcc_lo
	s_xor_b32 s3, exec_lo, s3
; %bb.2:
	v_bfe_u32 v3, v2, 16, 1
	s_delay_alu instid0(VALU_DEP_1)
	v_add3_u32 v3, v2, v3, 0x7fff
                                        ; implicit-def: $vgpr2
; %bb.3:
	s_and_not1_saveexec_b32 s3, s3
; %bb.4:
	v_and_b32_e32 v3, 0xffff, v2
	v_or_b32_e32 v4, 0x10000, v2
	s_delay_alu instid0(VALU_DEP_2) | instskip(NEXT) | instid1(VALU_DEP_2)
	v_cmp_eq_u32_e32 vcc_lo, 0, v3
	v_cndmask_b32_e32 v3, v4, v2, vcc_lo
; %bb.5:
	s_or_b32 exec_lo, exec_lo, s3
	s_delay_alu instid0(VALU_DEP_1)
	v_lshrrev_b32_e32 v2, 16, v3
.LBB219_6:
	s_or_b32 exec_lo, exec_lo, s2
	v_add_co_u32 v0, vcc_lo, s0, v0
	v_add_co_ci_u32_e32 v1, vcc_lo, s1, v1, vcc_lo
	global_store_b16 v[0:1], v2, off
	s_nop 0
	s_sendmsg sendmsg(MSG_DEALLOC_VGPRS)
	s_endpgm
	.section	.rodata,"a",@progbits
	.p2align	6, 0x0
	.amdhsa_kernel _Z33tail_segmented_warp_reduce_kernelI12hip_bfloat16hLj32ELj2EENSt9enable_ifIXsr10test_utilsE35device_test_enabled_for_warp_size_vIXT2_EEEvE4typeEPT_PT0_S5_
		.amdhsa_group_segment_fixed_size 0
		.amdhsa_private_segment_fixed_size 0
		.amdhsa_kernarg_size 280
		.amdhsa_user_sgpr_count 15
		.amdhsa_user_sgpr_dispatch_ptr 0
		.amdhsa_user_sgpr_queue_ptr 0
		.amdhsa_user_sgpr_kernarg_segment_ptr 1
		.amdhsa_user_sgpr_dispatch_id 0
		.amdhsa_user_sgpr_private_segment_size 0
		.amdhsa_wavefront_size32 1
		.amdhsa_uses_dynamic_stack 0
		.amdhsa_enable_private_segment 0
		.amdhsa_system_sgpr_workgroup_id_x 1
		.amdhsa_system_sgpr_workgroup_id_y 0
		.amdhsa_system_sgpr_workgroup_id_z 0
		.amdhsa_system_sgpr_workgroup_info 0
		.amdhsa_system_vgpr_workitem_id 0
		.amdhsa_next_free_vgpr 8
		.amdhsa_next_free_sgpr 16
		.amdhsa_reserve_vcc 1
		.amdhsa_float_round_mode_32 0
		.amdhsa_float_round_mode_16_64 0
		.amdhsa_float_denorm_mode_32 3
		.amdhsa_float_denorm_mode_16_64 3
		.amdhsa_dx10_clamp 1
		.amdhsa_ieee_mode 1
		.amdhsa_fp16_overflow 0
		.amdhsa_workgroup_processor_mode 1
		.amdhsa_memory_ordered 1
		.amdhsa_forward_progress 0
		.amdhsa_shared_vgpr_count 0
		.amdhsa_exception_fp_ieee_invalid_op 0
		.amdhsa_exception_fp_denorm_src 0
		.amdhsa_exception_fp_ieee_div_zero 0
		.amdhsa_exception_fp_ieee_overflow 0
		.amdhsa_exception_fp_ieee_underflow 0
		.amdhsa_exception_fp_ieee_inexact 0
		.amdhsa_exception_int_div_zero 0
	.end_amdhsa_kernel
	.section	.text._Z33tail_segmented_warp_reduce_kernelI12hip_bfloat16hLj32ELj2EENSt9enable_ifIXsr10test_utilsE35device_test_enabled_for_warp_size_vIXT2_EEEvE4typeEPT_PT0_S5_,"axG",@progbits,_Z33tail_segmented_warp_reduce_kernelI12hip_bfloat16hLj32ELj2EENSt9enable_ifIXsr10test_utilsE35device_test_enabled_for_warp_size_vIXT2_EEEvE4typeEPT_PT0_S5_,comdat
.Lfunc_end219:
	.size	_Z33tail_segmented_warp_reduce_kernelI12hip_bfloat16hLj32ELj2EENSt9enable_ifIXsr10test_utilsE35device_test_enabled_for_warp_size_vIXT2_EEEvE4typeEPT_PT0_S5_, .Lfunc_end219-_Z33tail_segmented_warp_reduce_kernelI12hip_bfloat16hLj32ELj2EENSt9enable_ifIXsr10test_utilsE35device_test_enabled_for_warp_size_vIXT2_EEEvE4typeEPT_PT0_S5_
                                        ; -- End function
	.section	.AMDGPU.csdata,"",@progbits
; Kernel info:
; codeLenInByte = 348
; NumSgprs: 18
; NumVgprs: 8
; ScratchSize: 0
; MemoryBound: 0
; FloatMode: 240
; IeeeMode: 1
; LDSByteSize: 0 bytes/workgroup (compile time only)
; SGPRBlocks: 2
; VGPRBlocks: 0
; NumSGPRsForWavesPerEU: 18
; NumVGPRsForWavesPerEU: 8
; Occupancy: 16
; WaveLimiterHint : 0
; COMPUTE_PGM_RSRC2:SCRATCH_EN: 0
; COMPUTE_PGM_RSRC2:USER_SGPR: 15
; COMPUTE_PGM_RSRC2:TRAP_HANDLER: 0
; COMPUTE_PGM_RSRC2:TGID_X_EN: 1
; COMPUTE_PGM_RSRC2:TGID_Y_EN: 0
; COMPUTE_PGM_RSRC2:TGID_Z_EN: 0
; COMPUTE_PGM_RSRC2:TIDIG_COMP_CNT: 0
	.section	.text._Z33tail_segmented_warp_reduce_kernelI12hip_bfloat16hLj64ELj2EENSt9enable_ifIXsr10test_utilsE35device_test_enabled_for_warp_size_vIXT2_EEEvE4typeEPT_PT0_S5_,"axG",@progbits,_Z33tail_segmented_warp_reduce_kernelI12hip_bfloat16hLj64ELj2EENSt9enable_ifIXsr10test_utilsE35device_test_enabled_for_warp_size_vIXT2_EEEvE4typeEPT_PT0_S5_,comdat
	.protected	_Z33tail_segmented_warp_reduce_kernelI12hip_bfloat16hLj64ELj2EENSt9enable_ifIXsr10test_utilsE35device_test_enabled_for_warp_size_vIXT2_EEEvE4typeEPT_PT0_S5_ ; -- Begin function _Z33tail_segmented_warp_reduce_kernelI12hip_bfloat16hLj64ELj2EENSt9enable_ifIXsr10test_utilsE35device_test_enabled_for_warp_size_vIXT2_EEEvE4typeEPT_PT0_S5_
	.globl	_Z33tail_segmented_warp_reduce_kernelI12hip_bfloat16hLj64ELj2EENSt9enable_ifIXsr10test_utilsE35device_test_enabled_for_warp_size_vIXT2_EEEvE4typeEPT_PT0_S5_
	.p2align	8
	.type	_Z33tail_segmented_warp_reduce_kernelI12hip_bfloat16hLj64ELj2EENSt9enable_ifIXsr10test_utilsE35device_test_enabled_for_warp_size_vIXT2_EEEvE4typeEPT_PT0_S5_,@function
_Z33tail_segmented_warp_reduce_kernelI12hip_bfloat16hLj64ELj2EENSt9enable_ifIXsr10test_utilsE35device_test_enabled_for_warp_size_vIXT2_EEEvE4typeEPT_PT0_S5_: ; @_Z33tail_segmented_warp_reduce_kernelI12hip_bfloat16hLj64ELj2EENSt9enable_ifIXsr10test_utilsE35device_test_enabled_for_warp_size_vIXT2_EEEvE4typeEPT_PT0_S5_
; %bb.0:
	s_clause 0x1
	s_load_b32 s2, s[0:1], 0x24
	s_load_b128 s[4:7], s[0:1], 0x0
	v_mbcnt_lo_u32_b32 v5, -1, 0
	s_load_b64 s[0:1], s[0:1], 0x10
	s_delay_alu instid0(VALU_DEP_1) | instskip(SKIP_2) | instid1(SALU_CYCLE_1)
	v_lshl_or_b32 v7, v5, 2, 4
	s_waitcnt lgkmcnt(0)
	s_and_b32 s2, s2, 0xffff
	v_mad_u64_u32 v[2:3], null, s15, s2, v[0:1]
	v_mov_b32_e32 v3, 0
	s_mov_b32 s2, exec_lo
	s_delay_alu instid0(VALU_DEP_1)
	v_lshlrev_b64 v[0:1], 1, v[2:3]
	global_load_u8 v4, v2, s[6:7]
	v_add_co_u32 v2, vcc_lo, s4, v0
	v_add_co_ci_u32_e32 v3, vcc_lo, s5, v1, vcc_lo
	global_load_u16 v2, v[2:3], off
	v_lshlrev_b32_e64 v3, v5, -1
	s_waitcnt vmcnt(1)
	v_cmp_ne_u16_e32 vcc_lo, 0, v4
	v_and_b32_e32 v4, 30, v5
	v_and_b32_e32 v5, 1, v5
	v_and_b32_e32 v6, vcc_lo, v3
	s_delay_alu instid0(VALU_DEP_1) | instskip(SKIP_2) | instid1(VALU_DEP_2)
	v_lshrrev_b32_e32 v6, v4, v6
	s_waitcnt vmcnt(0)
	v_and_b32_e32 v3, 0xffff, v2
	v_or_b32_e32 v6, 2, v6
	ds_bpermute_b32 v4, v7, v3
	v_ctz_i32_b32_e32 v6, v6
	s_delay_alu instid0(VALU_DEP_1)
	v_cmpx_lt_u32_e64 v5, v6
	s_cbranch_execz .LBB220_6
; %bb.1:
	v_lshlrev_b32_e32 v2, 16, v3
	s_waitcnt lgkmcnt(0)
	v_lshlrev_b32_e32 v3, 16, v4
	s_delay_alu instid0(VALU_DEP_1) | instskip(NEXT) | instid1(VALU_DEP_1)
	v_add_f32_e32 v2, v2, v3
	v_and_b32_e32 v3, 0x7f800000, v2
	s_delay_alu instid0(VALU_DEP_1) | instskip(SKIP_1) | instid1(SALU_CYCLE_1)
	v_cmp_ne_u32_e32 vcc_lo, 0x7f800000, v3
                                        ; implicit-def: $vgpr3
	s_and_saveexec_b32 s3, vcc_lo
	s_xor_b32 s3, exec_lo, s3
; %bb.2:
	v_bfe_u32 v3, v2, 16, 1
	s_delay_alu instid0(VALU_DEP_1)
	v_add3_u32 v3, v2, v3, 0x7fff
                                        ; implicit-def: $vgpr2
; %bb.3:
	s_and_not1_saveexec_b32 s3, s3
; %bb.4:
	v_and_b32_e32 v3, 0xffff, v2
	v_or_b32_e32 v4, 0x10000, v2
	s_delay_alu instid0(VALU_DEP_2) | instskip(NEXT) | instid1(VALU_DEP_2)
	v_cmp_eq_u32_e32 vcc_lo, 0, v3
	v_cndmask_b32_e32 v3, v4, v2, vcc_lo
; %bb.5:
	s_or_b32 exec_lo, exec_lo, s3
	s_delay_alu instid0(VALU_DEP_1)
	v_lshrrev_b32_e32 v2, 16, v3
.LBB220_6:
	s_or_b32 exec_lo, exec_lo, s2
	v_add_co_u32 v0, vcc_lo, s0, v0
	v_add_co_ci_u32_e32 v1, vcc_lo, s1, v1, vcc_lo
	global_store_b16 v[0:1], v2, off
	s_nop 0
	s_sendmsg sendmsg(MSG_DEALLOC_VGPRS)
	s_endpgm
	.section	.rodata,"a",@progbits
	.p2align	6, 0x0
	.amdhsa_kernel _Z33tail_segmented_warp_reduce_kernelI12hip_bfloat16hLj64ELj2EENSt9enable_ifIXsr10test_utilsE35device_test_enabled_for_warp_size_vIXT2_EEEvE4typeEPT_PT0_S5_
		.amdhsa_group_segment_fixed_size 0
		.amdhsa_private_segment_fixed_size 0
		.amdhsa_kernarg_size 280
		.amdhsa_user_sgpr_count 15
		.amdhsa_user_sgpr_dispatch_ptr 0
		.amdhsa_user_sgpr_queue_ptr 0
		.amdhsa_user_sgpr_kernarg_segment_ptr 1
		.amdhsa_user_sgpr_dispatch_id 0
		.amdhsa_user_sgpr_private_segment_size 0
		.amdhsa_wavefront_size32 1
		.amdhsa_uses_dynamic_stack 0
		.amdhsa_enable_private_segment 0
		.amdhsa_system_sgpr_workgroup_id_x 1
		.amdhsa_system_sgpr_workgroup_id_y 0
		.amdhsa_system_sgpr_workgroup_id_z 0
		.amdhsa_system_sgpr_workgroup_info 0
		.amdhsa_system_vgpr_workitem_id 0
		.amdhsa_next_free_vgpr 8
		.amdhsa_next_free_sgpr 16
		.amdhsa_reserve_vcc 1
		.amdhsa_float_round_mode_32 0
		.amdhsa_float_round_mode_16_64 0
		.amdhsa_float_denorm_mode_32 3
		.amdhsa_float_denorm_mode_16_64 3
		.amdhsa_dx10_clamp 1
		.amdhsa_ieee_mode 1
		.amdhsa_fp16_overflow 0
		.amdhsa_workgroup_processor_mode 1
		.amdhsa_memory_ordered 1
		.amdhsa_forward_progress 0
		.amdhsa_shared_vgpr_count 0
		.amdhsa_exception_fp_ieee_invalid_op 0
		.amdhsa_exception_fp_denorm_src 0
		.amdhsa_exception_fp_ieee_div_zero 0
		.amdhsa_exception_fp_ieee_overflow 0
		.amdhsa_exception_fp_ieee_underflow 0
		.amdhsa_exception_fp_ieee_inexact 0
		.amdhsa_exception_int_div_zero 0
	.end_amdhsa_kernel
	.section	.text._Z33tail_segmented_warp_reduce_kernelI12hip_bfloat16hLj64ELj2EENSt9enable_ifIXsr10test_utilsE35device_test_enabled_for_warp_size_vIXT2_EEEvE4typeEPT_PT0_S5_,"axG",@progbits,_Z33tail_segmented_warp_reduce_kernelI12hip_bfloat16hLj64ELj2EENSt9enable_ifIXsr10test_utilsE35device_test_enabled_for_warp_size_vIXT2_EEEvE4typeEPT_PT0_S5_,comdat
.Lfunc_end220:
	.size	_Z33tail_segmented_warp_reduce_kernelI12hip_bfloat16hLj64ELj2EENSt9enable_ifIXsr10test_utilsE35device_test_enabled_for_warp_size_vIXT2_EEEvE4typeEPT_PT0_S5_, .Lfunc_end220-_Z33tail_segmented_warp_reduce_kernelI12hip_bfloat16hLj64ELj2EENSt9enable_ifIXsr10test_utilsE35device_test_enabled_for_warp_size_vIXT2_EEEvE4typeEPT_PT0_S5_
                                        ; -- End function
	.section	.AMDGPU.csdata,"",@progbits
; Kernel info:
; codeLenInByte = 348
; NumSgprs: 18
; NumVgprs: 8
; ScratchSize: 0
; MemoryBound: 0
; FloatMode: 240
; IeeeMode: 1
; LDSByteSize: 0 bytes/workgroup (compile time only)
; SGPRBlocks: 2
; VGPRBlocks: 0
; NumSGPRsForWavesPerEU: 18
; NumVGPRsForWavesPerEU: 8
; Occupancy: 16
; WaveLimiterHint : 0
; COMPUTE_PGM_RSRC2:SCRATCH_EN: 0
; COMPUTE_PGM_RSRC2:USER_SGPR: 15
; COMPUTE_PGM_RSRC2:TRAP_HANDLER: 0
; COMPUTE_PGM_RSRC2:TGID_X_EN: 1
; COMPUTE_PGM_RSRC2:TGID_Y_EN: 0
; COMPUTE_PGM_RSRC2:TGID_Z_EN: 0
; COMPUTE_PGM_RSRC2:TIDIG_COMP_CNT: 0
	.section	.text._Z33tail_segmented_warp_reduce_kernelI12hip_bfloat16hLj32ELj1EENSt9enable_ifIXsr10test_utilsE35device_test_enabled_for_warp_size_vIXT2_EEEvE4typeEPT_PT0_S5_,"axG",@progbits,_Z33tail_segmented_warp_reduce_kernelI12hip_bfloat16hLj32ELj1EENSt9enable_ifIXsr10test_utilsE35device_test_enabled_for_warp_size_vIXT2_EEEvE4typeEPT_PT0_S5_,comdat
	.protected	_Z33tail_segmented_warp_reduce_kernelI12hip_bfloat16hLj32ELj1EENSt9enable_ifIXsr10test_utilsE35device_test_enabled_for_warp_size_vIXT2_EEEvE4typeEPT_PT0_S5_ ; -- Begin function _Z33tail_segmented_warp_reduce_kernelI12hip_bfloat16hLj32ELj1EENSt9enable_ifIXsr10test_utilsE35device_test_enabled_for_warp_size_vIXT2_EEEvE4typeEPT_PT0_S5_
	.globl	_Z33tail_segmented_warp_reduce_kernelI12hip_bfloat16hLj32ELj1EENSt9enable_ifIXsr10test_utilsE35device_test_enabled_for_warp_size_vIXT2_EEEvE4typeEPT_PT0_S5_
	.p2align	8
	.type	_Z33tail_segmented_warp_reduce_kernelI12hip_bfloat16hLj32ELj1EENSt9enable_ifIXsr10test_utilsE35device_test_enabled_for_warp_size_vIXT2_EEEvE4typeEPT_PT0_S5_,@function
_Z33tail_segmented_warp_reduce_kernelI12hip_bfloat16hLj32ELj1EENSt9enable_ifIXsr10test_utilsE35device_test_enabled_for_warp_size_vIXT2_EEEvE4typeEPT_PT0_S5_: ; @_Z33tail_segmented_warp_reduce_kernelI12hip_bfloat16hLj32ELj1EENSt9enable_ifIXsr10test_utilsE35device_test_enabled_for_warp_size_vIXT2_EEEvE4typeEPT_PT0_S5_
; %bb.0:
	s_clause 0x2
	s_load_b32 s4, s[0:1], 0x24
	s_load_b64 s[2:3], s[0:1], 0x0
	s_load_b64 s[0:1], s[0:1], 0x10
	s_waitcnt lgkmcnt(0)
	s_and_b32 s4, s4, 0xffff
	s_delay_alu instid0(SALU_CYCLE_1) | instskip(SKIP_1) | instid1(VALU_DEP_1)
	v_mad_u64_u32 v[1:2], null, s15, s4, v[0:1]
	v_mov_b32_e32 v2, 0
	v_lshlrev_b64 v[0:1], 1, v[1:2]
	s_delay_alu instid0(VALU_DEP_1) | instskip(NEXT) | instid1(VALU_DEP_2)
	v_add_co_u32 v2, vcc_lo, s2, v0
	v_add_co_ci_u32_e32 v3, vcc_lo, s3, v1, vcc_lo
	v_add_co_u32 v0, vcc_lo, s0, v0
	v_add_co_ci_u32_e32 v1, vcc_lo, s1, v1, vcc_lo
	global_load_u16 v2, v[2:3], off
	s_waitcnt vmcnt(0)
	global_store_b16 v[0:1], v2, off
	s_nop 0
	s_sendmsg sendmsg(MSG_DEALLOC_VGPRS)
	s_endpgm
	.section	.rodata,"a",@progbits
	.p2align	6, 0x0
	.amdhsa_kernel _Z33tail_segmented_warp_reduce_kernelI12hip_bfloat16hLj32ELj1EENSt9enable_ifIXsr10test_utilsE35device_test_enabled_for_warp_size_vIXT2_EEEvE4typeEPT_PT0_S5_
		.amdhsa_group_segment_fixed_size 0
		.amdhsa_private_segment_fixed_size 0
		.amdhsa_kernarg_size 280
		.amdhsa_user_sgpr_count 15
		.amdhsa_user_sgpr_dispatch_ptr 0
		.amdhsa_user_sgpr_queue_ptr 0
		.amdhsa_user_sgpr_kernarg_segment_ptr 1
		.amdhsa_user_sgpr_dispatch_id 0
		.amdhsa_user_sgpr_private_segment_size 0
		.amdhsa_wavefront_size32 1
		.amdhsa_uses_dynamic_stack 0
		.amdhsa_enable_private_segment 0
		.amdhsa_system_sgpr_workgroup_id_x 1
		.amdhsa_system_sgpr_workgroup_id_y 0
		.amdhsa_system_sgpr_workgroup_id_z 0
		.amdhsa_system_sgpr_workgroup_info 0
		.amdhsa_system_vgpr_workitem_id 0
		.amdhsa_next_free_vgpr 4
		.amdhsa_next_free_sgpr 16
		.amdhsa_reserve_vcc 1
		.amdhsa_float_round_mode_32 0
		.amdhsa_float_round_mode_16_64 0
		.amdhsa_float_denorm_mode_32 3
		.amdhsa_float_denorm_mode_16_64 3
		.amdhsa_dx10_clamp 1
		.amdhsa_ieee_mode 1
		.amdhsa_fp16_overflow 0
		.amdhsa_workgroup_processor_mode 1
		.amdhsa_memory_ordered 1
		.amdhsa_forward_progress 0
		.amdhsa_shared_vgpr_count 0
		.amdhsa_exception_fp_ieee_invalid_op 0
		.amdhsa_exception_fp_denorm_src 0
		.amdhsa_exception_fp_ieee_div_zero 0
		.amdhsa_exception_fp_ieee_overflow 0
		.amdhsa_exception_fp_ieee_underflow 0
		.amdhsa_exception_fp_ieee_inexact 0
		.amdhsa_exception_int_div_zero 0
	.end_amdhsa_kernel
	.section	.text._Z33tail_segmented_warp_reduce_kernelI12hip_bfloat16hLj32ELj1EENSt9enable_ifIXsr10test_utilsE35device_test_enabled_for_warp_size_vIXT2_EEEvE4typeEPT_PT0_S5_,"axG",@progbits,_Z33tail_segmented_warp_reduce_kernelI12hip_bfloat16hLj32ELj1EENSt9enable_ifIXsr10test_utilsE35device_test_enabled_for_warp_size_vIXT2_EEEvE4typeEPT_PT0_S5_,comdat
.Lfunc_end221:
	.size	_Z33tail_segmented_warp_reduce_kernelI12hip_bfloat16hLj32ELj1EENSt9enable_ifIXsr10test_utilsE35device_test_enabled_for_warp_size_vIXT2_EEEvE4typeEPT_PT0_S5_, .Lfunc_end221-_Z33tail_segmented_warp_reduce_kernelI12hip_bfloat16hLj32ELj1EENSt9enable_ifIXsr10test_utilsE35device_test_enabled_for_warp_size_vIXT2_EEEvE4typeEPT_PT0_S5_
                                        ; -- End function
	.section	.AMDGPU.csdata,"",@progbits
; Kernel info:
; codeLenInByte = 124
; NumSgprs: 18
; NumVgprs: 4
; ScratchSize: 0
; MemoryBound: 0
; FloatMode: 240
; IeeeMode: 1
; LDSByteSize: 0 bytes/workgroup (compile time only)
; SGPRBlocks: 2
; VGPRBlocks: 0
; NumSGPRsForWavesPerEU: 18
; NumVGPRsForWavesPerEU: 4
; Occupancy: 16
; WaveLimiterHint : 0
; COMPUTE_PGM_RSRC2:SCRATCH_EN: 0
; COMPUTE_PGM_RSRC2:USER_SGPR: 15
; COMPUTE_PGM_RSRC2:TRAP_HANDLER: 0
; COMPUTE_PGM_RSRC2:TGID_X_EN: 1
; COMPUTE_PGM_RSRC2:TGID_Y_EN: 0
; COMPUTE_PGM_RSRC2:TGID_Z_EN: 0
; COMPUTE_PGM_RSRC2:TIDIG_COMP_CNT: 0
	.section	.text._Z33tail_segmented_warp_reduce_kernelI12hip_bfloat16hLj64ELj1EENSt9enable_ifIXsr10test_utilsE35device_test_enabled_for_warp_size_vIXT2_EEEvE4typeEPT_PT0_S5_,"axG",@progbits,_Z33tail_segmented_warp_reduce_kernelI12hip_bfloat16hLj64ELj1EENSt9enable_ifIXsr10test_utilsE35device_test_enabled_for_warp_size_vIXT2_EEEvE4typeEPT_PT0_S5_,comdat
	.protected	_Z33tail_segmented_warp_reduce_kernelI12hip_bfloat16hLj64ELj1EENSt9enable_ifIXsr10test_utilsE35device_test_enabled_for_warp_size_vIXT2_EEEvE4typeEPT_PT0_S5_ ; -- Begin function _Z33tail_segmented_warp_reduce_kernelI12hip_bfloat16hLj64ELj1EENSt9enable_ifIXsr10test_utilsE35device_test_enabled_for_warp_size_vIXT2_EEEvE4typeEPT_PT0_S5_
	.globl	_Z33tail_segmented_warp_reduce_kernelI12hip_bfloat16hLj64ELj1EENSt9enable_ifIXsr10test_utilsE35device_test_enabled_for_warp_size_vIXT2_EEEvE4typeEPT_PT0_S5_
	.p2align	8
	.type	_Z33tail_segmented_warp_reduce_kernelI12hip_bfloat16hLj64ELj1EENSt9enable_ifIXsr10test_utilsE35device_test_enabled_for_warp_size_vIXT2_EEEvE4typeEPT_PT0_S5_,@function
_Z33tail_segmented_warp_reduce_kernelI12hip_bfloat16hLj64ELj1EENSt9enable_ifIXsr10test_utilsE35device_test_enabled_for_warp_size_vIXT2_EEEvE4typeEPT_PT0_S5_: ; @_Z33tail_segmented_warp_reduce_kernelI12hip_bfloat16hLj64ELj1EENSt9enable_ifIXsr10test_utilsE35device_test_enabled_for_warp_size_vIXT2_EEEvE4typeEPT_PT0_S5_
; %bb.0:
	s_clause 0x2
	s_load_b32 s4, s[0:1], 0x24
	s_load_b64 s[2:3], s[0:1], 0x0
	s_load_b64 s[0:1], s[0:1], 0x10
	s_waitcnt lgkmcnt(0)
	s_and_b32 s4, s4, 0xffff
	s_delay_alu instid0(SALU_CYCLE_1) | instskip(SKIP_1) | instid1(VALU_DEP_1)
	v_mad_u64_u32 v[1:2], null, s15, s4, v[0:1]
	v_mov_b32_e32 v2, 0
	v_lshlrev_b64 v[0:1], 1, v[1:2]
	s_delay_alu instid0(VALU_DEP_1) | instskip(NEXT) | instid1(VALU_DEP_2)
	v_add_co_u32 v2, vcc_lo, s2, v0
	v_add_co_ci_u32_e32 v3, vcc_lo, s3, v1, vcc_lo
	v_add_co_u32 v0, vcc_lo, s0, v0
	v_add_co_ci_u32_e32 v1, vcc_lo, s1, v1, vcc_lo
	global_load_u16 v2, v[2:3], off
	s_waitcnt vmcnt(0)
	global_store_b16 v[0:1], v2, off
	s_nop 0
	s_sendmsg sendmsg(MSG_DEALLOC_VGPRS)
	s_endpgm
	.section	.rodata,"a",@progbits
	.p2align	6, 0x0
	.amdhsa_kernel _Z33tail_segmented_warp_reduce_kernelI12hip_bfloat16hLj64ELj1EENSt9enable_ifIXsr10test_utilsE35device_test_enabled_for_warp_size_vIXT2_EEEvE4typeEPT_PT0_S5_
		.amdhsa_group_segment_fixed_size 0
		.amdhsa_private_segment_fixed_size 0
		.amdhsa_kernarg_size 280
		.amdhsa_user_sgpr_count 15
		.amdhsa_user_sgpr_dispatch_ptr 0
		.amdhsa_user_sgpr_queue_ptr 0
		.amdhsa_user_sgpr_kernarg_segment_ptr 1
		.amdhsa_user_sgpr_dispatch_id 0
		.amdhsa_user_sgpr_private_segment_size 0
		.amdhsa_wavefront_size32 1
		.amdhsa_uses_dynamic_stack 0
		.amdhsa_enable_private_segment 0
		.amdhsa_system_sgpr_workgroup_id_x 1
		.amdhsa_system_sgpr_workgroup_id_y 0
		.amdhsa_system_sgpr_workgroup_id_z 0
		.amdhsa_system_sgpr_workgroup_info 0
		.amdhsa_system_vgpr_workitem_id 0
		.amdhsa_next_free_vgpr 4
		.amdhsa_next_free_sgpr 16
		.amdhsa_reserve_vcc 1
		.amdhsa_float_round_mode_32 0
		.amdhsa_float_round_mode_16_64 0
		.amdhsa_float_denorm_mode_32 3
		.amdhsa_float_denorm_mode_16_64 3
		.amdhsa_dx10_clamp 1
		.amdhsa_ieee_mode 1
		.amdhsa_fp16_overflow 0
		.amdhsa_workgroup_processor_mode 1
		.amdhsa_memory_ordered 1
		.amdhsa_forward_progress 0
		.amdhsa_shared_vgpr_count 0
		.amdhsa_exception_fp_ieee_invalid_op 0
		.amdhsa_exception_fp_denorm_src 0
		.amdhsa_exception_fp_ieee_div_zero 0
		.amdhsa_exception_fp_ieee_overflow 0
		.amdhsa_exception_fp_ieee_underflow 0
		.amdhsa_exception_fp_ieee_inexact 0
		.amdhsa_exception_int_div_zero 0
	.end_amdhsa_kernel
	.section	.text._Z33tail_segmented_warp_reduce_kernelI12hip_bfloat16hLj64ELj1EENSt9enable_ifIXsr10test_utilsE35device_test_enabled_for_warp_size_vIXT2_EEEvE4typeEPT_PT0_S5_,"axG",@progbits,_Z33tail_segmented_warp_reduce_kernelI12hip_bfloat16hLj64ELj1EENSt9enable_ifIXsr10test_utilsE35device_test_enabled_for_warp_size_vIXT2_EEEvE4typeEPT_PT0_S5_,comdat
.Lfunc_end222:
	.size	_Z33tail_segmented_warp_reduce_kernelI12hip_bfloat16hLj64ELj1EENSt9enable_ifIXsr10test_utilsE35device_test_enabled_for_warp_size_vIXT2_EEEvE4typeEPT_PT0_S5_, .Lfunc_end222-_Z33tail_segmented_warp_reduce_kernelI12hip_bfloat16hLj64ELj1EENSt9enable_ifIXsr10test_utilsE35device_test_enabled_for_warp_size_vIXT2_EEEvE4typeEPT_PT0_S5_
                                        ; -- End function
	.section	.AMDGPU.csdata,"",@progbits
; Kernel info:
; codeLenInByte = 124
; NumSgprs: 18
; NumVgprs: 4
; ScratchSize: 0
; MemoryBound: 0
; FloatMode: 240
; IeeeMode: 1
; LDSByteSize: 0 bytes/workgroup (compile time only)
; SGPRBlocks: 2
; VGPRBlocks: 0
; NumSGPRsForWavesPerEU: 18
; NumVGPRsForWavesPerEU: 4
; Occupancy: 16
; WaveLimiterHint : 0
; COMPUTE_PGM_RSRC2:SCRATCH_EN: 0
; COMPUTE_PGM_RSRC2:USER_SGPR: 15
; COMPUTE_PGM_RSRC2:TRAP_HANDLER: 0
; COMPUTE_PGM_RSRC2:TGID_X_EN: 1
; COMPUTE_PGM_RSRC2:TGID_Y_EN: 0
; COMPUTE_PGM_RSRC2:TGID_Z_EN: 0
; COMPUTE_PGM_RSRC2:TIDIG_COMP_CNT: 0
	.section	.text._Z33tail_segmented_warp_reduce_kernelI6__halfhLj256ELj64EENSt9enable_ifIXntsr10test_utilsE35device_test_enabled_for_warp_size_vIXT2_EEEvE4typeEPT_PT0_S5_,"axG",@progbits,_Z33tail_segmented_warp_reduce_kernelI6__halfhLj256ELj64EENSt9enable_ifIXntsr10test_utilsE35device_test_enabled_for_warp_size_vIXT2_EEEvE4typeEPT_PT0_S5_,comdat
	.protected	_Z33tail_segmented_warp_reduce_kernelI6__halfhLj256ELj64EENSt9enable_ifIXntsr10test_utilsE35device_test_enabled_for_warp_size_vIXT2_EEEvE4typeEPT_PT0_S5_ ; -- Begin function _Z33tail_segmented_warp_reduce_kernelI6__halfhLj256ELj64EENSt9enable_ifIXntsr10test_utilsE35device_test_enabled_for_warp_size_vIXT2_EEEvE4typeEPT_PT0_S5_
	.globl	_Z33tail_segmented_warp_reduce_kernelI6__halfhLj256ELj64EENSt9enable_ifIXntsr10test_utilsE35device_test_enabled_for_warp_size_vIXT2_EEEvE4typeEPT_PT0_S5_
	.p2align	8
	.type	_Z33tail_segmented_warp_reduce_kernelI6__halfhLj256ELj64EENSt9enable_ifIXntsr10test_utilsE35device_test_enabled_for_warp_size_vIXT2_EEEvE4typeEPT_PT0_S5_,@function
_Z33tail_segmented_warp_reduce_kernelI6__halfhLj256ELj64EENSt9enable_ifIXntsr10test_utilsE35device_test_enabled_for_warp_size_vIXT2_EEEvE4typeEPT_PT0_S5_: ; @_Z33tail_segmented_warp_reduce_kernelI6__halfhLj256ELj64EENSt9enable_ifIXntsr10test_utilsE35device_test_enabled_for_warp_size_vIXT2_EEEvE4typeEPT_PT0_S5_
; %bb.0:
	s_endpgm
	.section	.rodata,"a",@progbits
	.p2align	6, 0x0
	.amdhsa_kernel _Z33tail_segmented_warp_reduce_kernelI6__halfhLj256ELj64EENSt9enable_ifIXntsr10test_utilsE35device_test_enabled_for_warp_size_vIXT2_EEEvE4typeEPT_PT0_S5_
		.amdhsa_group_segment_fixed_size 0
		.amdhsa_private_segment_fixed_size 0
		.amdhsa_kernarg_size 24
		.amdhsa_user_sgpr_count 15
		.amdhsa_user_sgpr_dispatch_ptr 0
		.amdhsa_user_sgpr_queue_ptr 0
		.amdhsa_user_sgpr_kernarg_segment_ptr 1
		.amdhsa_user_sgpr_dispatch_id 0
		.amdhsa_user_sgpr_private_segment_size 0
		.amdhsa_wavefront_size32 1
		.amdhsa_uses_dynamic_stack 0
		.amdhsa_enable_private_segment 0
		.amdhsa_system_sgpr_workgroup_id_x 1
		.amdhsa_system_sgpr_workgroup_id_y 0
		.amdhsa_system_sgpr_workgroup_id_z 0
		.amdhsa_system_sgpr_workgroup_info 0
		.amdhsa_system_vgpr_workitem_id 0
		.amdhsa_next_free_vgpr 1
		.amdhsa_next_free_sgpr 1
		.amdhsa_reserve_vcc 0
		.amdhsa_float_round_mode_32 0
		.amdhsa_float_round_mode_16_64 0
		.amdhsa_float_denorm_mode_32 3
		.amdhsa_float_denorm_mode_16_64 3
		.amdhsa_dx10_clamp 1
		.amdhsa_ieee_mode 1
		.amdhsa_fp16_overflow 0
		.amdhsa_workgroup_processor_mode 1
		.amdhsa_memory_ordered 1
		.amdhsa_forward_progress 0
		.amdhsa_shared_vgpr_count 0
		.amdhsa_exception_fp_ieee_invalid_op 0
		.amdhsa_exception_fp_denorm_src 0
		.amdhsa_exception_fp_ieee_div_zero 0
		.amdhsa_exception_fp_ieee_overflow 0
		.amdhsa_exception_fp_ieee_underflow 0
		.amdhsa_exception_fp_ieee_inexact 0
		.amdhsa_exception_int_div_zero 0
	.end_amdhsa_kernel
	.section	.text._Z33tail_segmented_warp_reduce_kernelI6__halfhLj256ELj64EENSt9enable_ifIXntsr10test_utilsE35device_test_enabled_for_warp_size_vIXT2_EEEvE4typeEPT_PT0_S5_,"axG",@progbits,_Z33tail_segmented_warp_reduce_kernelI6__halfhLj256ELj64EENSt9enable_ifIXntsr10test_utilsE35device_test_enabled_for_warp_size_vIXT2_EEEvE4typeEPT_PT0_S5_,comdat
.Lfunc_end223:
	.size	_Z33tail_segmented_warp_reduce_kernelI6__halfhLj256ELj64EENSt9enable_ifIXntsr10test_utilsE35device_test_enabled_for_warp_size_vIXT2_EEEvE4typeEPT_PT0_S5_, .Lfunc_end223-_Z33tail_segmented_warp_reduce_kernelI6__halfhLj256ELj64EENSt9enable_ifIXntsr10test_utilsE35device_test_enabled_for_warp_size_vIXT2_EEEvE4typeEPT_PT0_S5_
                                        ; -- End function
	.section	.AMDGPU.csdata,"",@progbits
; Kernel info:
; codeLenInByte = 4
; NumSgprs: 0
; NumVgprs: 0
; ScratchSize: 0
; MemoryBound: 0
; FloatMode: 240
; IeeeMode: 1
; LDSByteSize: 0 bytes/workgroup (compile time only)
; SGPRBlocks: 0
; VGPRBlocks: 0
; NumSGPRsForWavesPerEU: 1
; NumVGPRsForWavesPerEU: 1
; Occupancy: 16
; WaveLimiterHint : 0
; COMPUTE_PGM_RSRC2:SCRATCH_EN: 0
; COMPUTE_PGM_RSRC2:USER_SGPR: 15
; COMPUTE_PGM_RSRC2:TRAP_HANDLER: 0
; COMPUTE_PGM_RSRC2:TGID_X_EN: 1
; COMPUTE_PGM_RSRC2:TGID_Y_EN: 0
; COMPUTE_PGM_RSRC2:TGID_Z_EN: 0
; COMPUTE_PGM_RSRC2:TIDIG_COMP_CNT: 0
	.section	.text._Z33tail_segmented_warp_reduce_kernelI6__halfhLj128ELj32EENSt9enable_ifIXsr10test_utilsE35device_test_enabled_for_warp_size_vIXT2_EEEvE4typeEPT_PT0_S5_,"axG",@progbits,_Z33tail_segmented_warp_reduce_kernelI6__halfhLj128ELj32EENSt9enable_ifIXsr10test_utilsE35device_test_enabled_for_warp_size_vIXT2_EEEvE4typeEPT_PT0_S5_,comdat
	.protected	_Z33tail_segmented_warp_reduce_kernelI6__halfhLj128ELj32EENSt9enable_ifIXsr10test_utilsE35device_test_enabled_for_warp_size_vIXT2_EEEvE4typeEPT_PT0_S5_ ; -- Begin function _Z33tail_segmented_warp_reduce_kernelI6__halfhLj128ELj32EENSt9enable_ifIXsr10test_utilsE35device_test_enabled_for_warp_size_vIXT2_EEEvE4typeEPT_PT0_S5_
	.globl	_Z33tail_segmented_warp_reduce_kernelI6__halfhLj128ELj32EENSt9enable_ifIXsr10test_utilsE35device_test_enabled_for_warp_size_vIXT2_EEEvE4typeEPT_PT0_S5_
	.p2align	8
	.type	_Z33tail_segmented_warp_reduce_kernelI6__halfhLj128ELj32EENSt9enable_ifIXsr10test_utilsE35device_test_enabled_for_warp_size_vIXT2_EEEvE4typeEPT_PT0_S5_,@function
_Z33tail_segmented_warp_reduce_kernelI6__halfhLj128ELj32EENSt9enable_ifIXsr10test_utilsE35device_test_enabled_for_warp_size_vIXT2_EEEvE4typeEPT_PT0_S5_: ; @_Z33tail_segmented_warp_reduce_kernelI6__halfhLj128ELj32EENSt9enable_ifIXsr10test_utilsE35device_test_enabled_for_warp_size_vIXT2_EEEvE4typeEPT_PT0_S5_
; %bb.0:
	s_clause 0x1
	s_load_b32 s2, s[0:1], 0x24
	s_load_b128 s[8:11], s[0:1], 0x0
	v_mbcnt_lo_u32_b32 v9, -1, 0
	s_load_b64 s[4:5], s[0:1], 0x10
	s_delay_alu instid0(VALU_DEP_1) | instskip(SKIP_3) | instid1(VALU_DEP_3)
	v_lshlrev_b32_e64 v6, v9, -1
	v_cmp_gt_u32_e64 s0, 30, v9
	v_add_nc_u32_e32 v8, 2, v9
	v_cmp_gt_u32_e64 s1, 16, v9
	v_cndmask_b32_e64 v7, 0, 1, s0
	v_cmp_gt_u32_e64 s0, 24, v9
	s_waitcnt lgkmcnt(0)
	s_and_b32 s2, s2, 0xffff
	s_delay_alu instid0(SALU_CYCLE_1) | instskip(SKIP_1) | instid1(VALU_DEP_1)
	v_mad_u64_u32 v[3:4], null, s15, s2, v[0:1]
	v_mov_b32_e32 v4, 0
	v_lshlrev_b64 v[0:1], 1, v[3:4]
	s_delay_alu instid0(VALU_DEP_1) | instskip(NEXT) | instid1(VALU_DEP_2)
	v_add_co_u32 v4, vcc_lo, s8, v0
	v_add_co_ci_u32_e32 v5, vcc_lo, s9, v1, vcc_lo
	v_cmp_ne_u32_e32 vcc_lo, 31, v9
	global_load_u16 v2, v[4:5], off
	global_load_u8 v3, v3, s[10:11]
	v_add_co_ci_u32_e32 v4, vcc_lo, 0, v9, vcc_lo
	s_delay_alu instid0(VALU_DEP_1)
	v_lshlrev_b32_e32 v4, 2, v4
	s_waitcnt vmcnt(1)
	v_and_b32_e32 v5, 0xffff, v2
	s_waitcnt vmcnt(0)
	v_cmp_ne_u16_e32 vcc_lo, 0, v3
	ds_bpermute_b32 v4, v4, v5
	v_and_or_b32 v6, v6, vcc_lo, 0x80000000
	v_cmp_gt_u32_e32 vcc_lo, 28, v9
	s_delay_alu instid0(VALU_DEP_2) | instskip(SKIP_3) | instid1(VALU_DEP_2)
	v_ctz_i32_b32_e32 v10, v6
	s_waitcnt lgkmcnt(0)
	v_add_f16_e32 v3, v2, v4
	v_add_nc_u32_e32 v4, 1, v9
	v_and_b32_e32 v6, 0xffff, v3
	s_delay_alu instid0(VALU_DEP_2) | instskip(NEXT) | instid1(VALU_DEP_1)
	v_cmp_le_u32_e64 s2, v4, v10
	v_cndmask_b32_e64 v5, v5, v6, s2
	v_cndmask_b32_e64 v6, v2, v3, s2
	v_lshlrev_b32_e32 v7, 1, v7
	s_delay_alu instid0(VALU_DEP_1) | instskip(SKIP_3) | instid1(VALU_DEP_2)
	v_add_lshl_u32 v7, v7, v9, 2
	ds_bpermute_b32 v4, v7, v5
	v_cndmask_b32_e64 v7, 0, 1, vcc_lo
	v_cmp_le_u32_e32 vcc_lo, v8, v10
	v_lshlrev_b32_e32 v7, 2, v7
	s_or_b32 s3, s2, vcc_lo
	s_delay_alu instid0(VALU_DEP_1) | instskip(SKIP_2) | instid1(VALU_DEP_1)
	v_add_lshl_u32 v7, v7, v9, 2
	s_waitcnt lgkmcnt(0)
	v_add_f16_e32 v4, v4, v6
	v_cndmask_b32_e32 v6, v6, v4, vcc_lo
	v_and_b32_e32 v11, 0xffff, v4
	s_delay_alu instid0(VALU_DEP_1) | instskip(SKIP_4) | instid1(VALU_DEP_3)
	v_dual_cndmask_b32 v8, v5, v11 :: v_dual_add_nc_u32 v11, 4, v9
	ds_bpermute_b32 v5, v7, v8
	v_cndmask_b32_e64 v7, 0, 1, s0
	v_cmp_le_u32_e64 s0, v11, v10
	v_cndmask_b32_e64 v11, 0, 1, s1
	v_lshlrev_b32_e32 v7, 3, v7
	s_delay_alu instid0(VALU_DEP_3) | instskip(NEXT) | instid1(VALU_DEP_2)
	s_or_b32 s3, s0, s3
	v_lshlrev_b32_e32 v11, 4, v11
	s_delay_alu instid0(VALU_DEP_2) | instskip(NEXT) | instid1(VALU_DEP_2)
	v_add_lshl_u32 v7, v7, v9, 2
	v_add_lshl_u32 v11, v11, v9, 2
	s_waitcnt lgkmcnt(0)
	v_add_f16_e32 v5, v5, v6
	s_delay_alu instid0(VALU_DEP_1) | instskip(SKIP_1) | instid1(VALU_DEP_2)
	v_and_b32_e32 v12, 0xffff, v5
	v_cndmask_b32_e64 v6, v6, v5, s0
	v_cndmask_b32_e64 v8, v8, v12, s0
	v_add_nc_u32_e32 v12, 8, v9
	v_add_nc_u32_e32 v9, 16, v9
	ds_bpermute_b32 v7, v7, v8
	v_cmp_le_u32_e64 s1, v12, v10
	v_cmp_le_u32_e64 s2, v9, v10
	s_delay_alu instid0(VALU_DEP_2)
	s_or_b32 s3, s1, s3
	s_delay_alu instid0(VALU_DEP_1) | instid1(SALU_CYCLE_1)
	s_or_b32 s6, s2, s3
	s_waitcnt lgkmcnt(0)
	v_add_f16_e32 v7, v7, v6
	s_delay_alu instid0(VALU_DEP_1) | instskip(NEXT) | instid1(VALU_DEP_1)
	v_and_b32_e32 v13, 0xffff, v7
	v_cndmask_b32_e64 v8, v8, v13, s1
	ds_bpermute_b32 v8, v11, v8
	s_and_saveexec_b32 s3, s6
	s_cbranch_execz .LBB224_2
; %bb.1:
	v_cndmask_b32_e32 v2, v3, v4, vcc_lo
	v_cndmask_b32_e64 v3, v6, v7, s1
	s_delay_alu instid0(VALU_DEP_2) | instskip(SKIP_1) | instid1(VALU_DEP_2)
	v_cndmask_b32_e64 v2, v2, v5, s0
	s_waitcnt lgkmcnt(0)
	v_add_f16_e32 v3, v8, v3
	s_delay_alu instid0(VALU_DEP_2) | instskip(NEXT) | instid1(VALU_DEP_1)
	v_cndmask_b32_e64 v2, v2, v7, s1
	v_cndmask_b32_e64 v2, v2, v3, s2
.LBB224_2:
	s_or_b32 exec_lo, exec_lo, s3
	v_add_co_u32 v0, vcc_lo, s4, v0
	v_add_co_ci_u32_e32 v1, vcc_lo, s5, v1, vcc_lo
	global_store_b16 v[0:1], v2, off
	s_nop 0
	s_sendmsg sendmsg(MSG_DEALLOC_VGPRS)
	s_endpgm
	.section	.rodata,"a",@progbits
	.p2align	6, 0x0
	.amdhsa_kernel _Z33tail_segmented_warp_reduce_kernelI6__halfhLj128ELj32EENSt9enable_ifIXsr10test_utilsE35device_test_enabled_for_warp_size_vIXT2_EEEvE4typeEPT_PT0_S5_
		.amdhsa_group_segment_fixed_size 0
		.amdhsa_private_segment_fixed_size 0
		.amdhsa_kernarg_size 280
		.amdhsa_user_sgpr_count 15
		.amdhsa_user_sgpr_dispatch_ptr 0
		.amdhsa_user_sgpr_queue_ptr 0
		.amdhsa_user_sgpr_kernarg_segment_ptr 1
		.amdhsa_user_sgpr_dispatch_id 0
		.amdhsa_user_sgpr_private_segment_size 0
		.amdhsa_wavefront_size32 1
		.amdhsa_uses_dynamic_stack 0
		.amdhsa_enable_private_segment 0
		.amdhsa_system_sgpr_workgroup_id_x 1
		.amdhsa_system_sgpr_workgroup_id_y 0
		.amdhsa_system_sgpr_workgroup_id_z 0
		.amdhsa_system_sgpr_workgroup_info 0
		.amdhsa_system_vgpr_workitem_id 0
		.amdhsa_next_free_vgpr 14
		.amdhsa_next_free_sgpr 16
		.amdhsa_reserve_vcc 1
		.amdhsa_float_round_mode_32 0
		.amdhsa_float_round_mode_16_64 0
		.amdhsa_float_denorm_mode_32 3
		.amdhsa_float_denorm_mode_16_64 3
		.amdhsa_dx10_clamp 1
		.amdhsa_ieee_mode 1
		.amdhsa_fp16_overflow 0
		.amdhsa_workgroup_processor_mode 1
		.amdhsa_memory_ordered 1
		.amdhsa_forward_progress 0
		.amdhsa_shared_vgpr_count 0
		.amdhsa_exception_fp_ieee_invalid_op 0
		.amdhsa_exception_fp_denorm_src 0
		.amdhsa_exception_fp_ieee_div_zero 0
		.amdhsa_exception_fp_ieee_overflow 0
		.amdhsa_exception_fp_ieee_underflow 0
		.amdhsa_exception_fp_ieee_inexact 0
		.amdhsa_exception_int_div_zero 0
	.end_amdhsa_kernel
	.section	.text._Z33tail_segmented_warp_reduce_kernelI6__halfhLj128ELj32EENSt9enable_ifIXsr10test_utilsE35device_test_enabled_for_warp_size_vIXT2_EEEvE4typeEPT_PT0_S5_,"axG",@progbits,_Z33tail_segmented_warp_reduce_kernelI6__halfhLj128ELj32EENSt9enable_ifIXsr10test_utilsE35device_test_enabled_for_warp_size_vIXT2_EEEvE4typeEPT_PT0_S5_,comdat
.Lfunc_end224:
	.size	_Z33tail_segmented_warp_reduce_kernelI6__halfhLj128ELj32EENSt9enable_ifIXsr10test_utilsE35device_test_enabled_for_warp_size_vIXT2_EEEvE4typeEPT_PT0_S5_, .Lfunc_end224-_Z33tail_segmented_warp_reduce_kernelI6__halfhLj128ELj32EENSt9enable_ifIXsr10test_utilsE35device_test_enabled_for_warp_size_vIXT2_EEEvE4typeEPT_PT0_S5_
                                        ; -- End function
	.section	.AMDGPU.csdata,"",@progbits
; Kernel info:
; codeLenInByte = 640
; NumSgprs: 18
; NumVgprs: 14
; ScratchSize: 0
; MemoryBound: 0
; FloatMode: 240
; IeeeMode: 1
; LDSByteSize: 0 bytes/workgroup (compile time only)
; SGPRBlocks: 2
; VGPRBlocks: 1
; NumSGPRsForWavesPerEU: 18
; NumVGPRsForWavesPerEU: 14
; Occupancy: 16
; WaveLimiterHint : 0
; COMPUTE_PGM_RSRC2:SCRATCH_EN: 0
; COMPUTE_PGM_RSRC2:USER_SGPR: 15
; COMPUTE_PGM_RSRC2:TRAP_HANDLER: 0
; COMPUTE_PGM_RSRC2:TGID_X_EN: 1
; COMPUTE_PGM_RSRC2:TGID_Y_EN: 0
; COMPUTE_PGM_RSRC2:TGID_Z_EN: 0
; COMPUTE_PGM_RSRC2:TIDIG_COMP_CNT: 0
	.section	.text._Z33tail_segmented_warp_reduce_kernelI6__halfhLj64ELj16EENSt9enable_ifIXsr10test_utilsE35device_test_enabled_for_warp_size_vIXT2_EEEvE4typeEPT_PT0_S5_,"axG",@progbits,_Z33tail_segmented_warp_reduce_kernelI6__halfhLj64ELj16EENSt9enable_ifIXsr10test_utilsE35device_test_enabled_for_warp_size_vIXT2_EEEvE4typeEPT_PT0_S5_,comdat
	.protected	_Z33tail_segmented_warp_reduce_kernelI6__halfhLj64ELj16EENSt9enable_ifIXsr10test_utilsE35device_test_enabled_for_warp_size_vIXT2_EEEvE4typeEPT_PT0_S5_ ; -- Begin function _Z33tail_segmented_warp_reduce_kernelI6__halfhLj64ELj16EENSt9enable_ifIXsr10test_utilsE35device_test_enabled_for_warp_size_vIXT2_EEEvE4typeEPT_PT0_S5_
	.globl	_Z33tail_segmented_warp_reduce_kernelI6__halfhLj64ELj16EENSt9enable_ifIXsr10test_utilsE35device_test_enabled_for_warp_size_vIXT2_EEEvE4typeEPT_PT0_S5_
	.p2align	8
	.type	_Z33tail_segmented_warp_reduce_kernelI6__halfhLj64ELj16EENSt9enable_ifIXsr10test_utilsE35device_test_enabled_for_warp_size_vIXT2_EEEvE4typeEPT_PT0_S5_,@function
_Z33tail_segmented_warp_reduce_kernelI6__halfhLj64ELj16EENSt9enable_ifIXsr10test_utilsE35device_test_enabled_for_warp_size_vIXT2_EEEvE4typeEPT_PT0_S5_: ; @_Z33tail_segmented_warp_reduce_kernelI6__halfhLj64ELj16EENSt9enable_ifIXsr10test_utilsE35device_test_enabled_for_warp_size_vIXT2_EEEvE4typeEPT_PT0_S5_
; %bb.0:
	s_clause 0x1
	s_load_b32 s2, s[0:1], 0x24
	s_load_b128 s[4:7], s[0:1], 0x0
	v_mbcnt_lo_u32_b32 v9, -1, 0
	s_delay_alu instid0(VALU_DEP_1) | instskip(SKIP_2) | instid1(SALU_CYCLE_1)
	v_lshlrev_b32_e64 v7, v9, -1
	s_waitcnt lgkmcnt(0)
	s_and_b32 s2, s2, 0xffff
	v_mad_u64_u32 v[3:4], null, s15, s2, v[0:1]
	v_mov_b32_e32 v4, 0
	s_load_b64 s[2:3], s[0:1], 0x10
	s_delay_alu instid0(VALU_DEP_1) | instskip(NEXT) | instid1(VALU_DEP_1)
	v_lshlrev_b64 v[0:1], 1, v[3:4]
	v_add_co_u32 v4, vcc_lo, s4, v0
	s_delay_alu instid0(VALU_DEP_2) | instskip(SKIP_3) | instid1(VALU_DEP_1)
	v_add_co_ci_u32_e32 v5, vcc_lo, s5, v1, vcc_lo
	global_load_u16 v2, v[4:5], off
	global_load_u8 v4, v3, s[6:7]
	v_and_b32_e32 v3, 15, v9
	v_cmp_ne_u32_e32 vcc_lo, 15, v3
	v_add_nc_u32_e32 v11, 2, v3
	v_cmp_gt_u32_e64 s0, 8, v3
	v_add_co_ci_u32_e32 v5, vcc_lo, 0, v9, vcc_lo
	s_delay_alu instid0(VALU_DEP_1)
	v_lshlrev_b32_e32 v5, 2, v5
	s_waitcnt vmcnt(0)
	v_cmp_ne_u16_e32 vcc_lo, 0, v4
	v_and_b32_e32 v4, 16, v9
	v_and_b32_e32 v7, vcc_lo, v7
	v_cmp_gt_u32_e32 vcc_lo, 14, v3
	s_delay_alu instid0(VALU_DEP_2) | instskip(SKIP_2) | instid1(VALU_DEP_3)
	v_lshrrev_b32_e32 v4, v4, v7
	v_cndmask_b32_e64 v7, 0, 1, vcc_lo
	v_cmp_gt_u32_e32 vcc_lo, 12, v3
	v_or_b32_e32 v4, 0x8000, v4
	s_delay_alu instid0(VALU_DEP_3) | instskip(SKIP_1) | instid1(VALU_DEP_3)
	v_lshlrev_b32_e32 v7, 1, v7
	v_cndmask_b32_e64 v10, 0, 1, vcc_lo
	v_ctz_i32_b32_e32 v4, v4
	s_delay_alu instid0(VALU_DEP_3) | instskip(NEXT) | instid1(VALU_DEP_3)
	v_add_lshl_u32 v7, v7, v9, 2
	v_lshlrev_b32_e32 v10, 2, v10
	s_delay_alu instid0(VALU_DEP_3) | instskip(SKIP_2) | instid1(VALU_DEP_4)
	v_cmp_gt_u32_e32 vcc_lo, v11, v4
	v_and_b32_e32 v6, 0xffff, v2
	v_cmp_lt_u32_e64 s1, v3, v4
	v_add_lshl_u32 v10, v10, v9, 2
	ds_bpermute_b32 v5, v5, v6
	s_waitcnt lgkmcnt(0)
	v_add_f16_e32 v5, v2, v5
	s_delay_alu instid0(VALU_DEP_1) | instskip(NEXT) | instid1(VALU_DEP_1)
	v_and_b32_e32 v8, 0xffff, v5
	v_cndmask_b32_e64 v8, v6, v8, s1
	ds_bpermute_b32 v6, v7, v8
	v_cndmask_b32_e64 v7, v2, v5, s1
	s_waitcnt lgkmcnt(0)
	s_delay_alu instid0(VALU_DEP_1) | instskip(NEXT) | instid1(VALU_DEP_1)
	v_add_f16_e32 v6, v6, v7
	v_dual_cndmask_b32 v7, v6, v7 :: v_dual_and_b32 v12, 0xffff, v6
	s_delay_alu instid0(VALU_DEP_1) | instskip(SKIP_3) | instid1(VALU_DEP_2)
	v_dual_cndmask_b32 v11, v12, v8 :: v_dual_add_nc_u32 v12, 4, v3
	ds_bpermute_b32 v8, v10, v11
	v_cndmask_b32_e64 v10, 0, 1, s0
	v_cmp_gt_u32_e64 s0, v12, v4
	v_lshlrev_b32_e32 v10, 3, v10
	s_delay_alu instid0(VALU_DEP_1) | instskip(SKIP_2) | instid1(VALU_DEP_1)
	v_add_lshl_u32 v9, v10, v9, 2
	s_waitcnt lgkmcnt(0)
	v_add_f16_e32 v8, v8, v7
	v_and_b32_e32 v13, 0xffff, v8
	s_delay_alu instid0(VALU_DEP_1)
	v_cndmask_b32_e64 v11, v13, v11, s0
	ds_bpermute_b32 v9, v9, v11
	s_and_saveexec_b32 s4, s1
	s_cbranch_execz .LBB225_2
; %bb.1:
	v_dual_cndmask_b32 v2, v6, v5 :: v_dual_add_nc_u32 v3, 8, v3
	v_cndmask_b32_e64 v5, v8, v7, s0
	s_delay_alu instid0(VALU_DEP_2) | instskip(NEXT) | instid1(VALU_DEP_3)
	v_cndmask_b32_e64 v2, v8, v2, s0
	v_cmp_gt_u32_e32 vcc_lo, v3, v4
	s_waitcnt lgkmcnt(0)
	s_delay_alu instid0(VALU_DEP_3) | instskip(NEXT) | instid1(VALU_DEP_1)
	v_add_f16_e32 v5, v9, v5
	v_cndmask_b32_e32 v2, v5, v2, vcc_lo
.LBB225_2:
	s_or_b32 exec_lo, exec_lo, s4
	v_add_co_u32 v0, vcc_lo, s2, v0
	v_add_co_ci_u32_e32 v1, vcc_lo, s3, v1, vcc_lo
	global_store_b16 v[0:1], v2, off
	s_nop 0
	s_sendmsg sendmsg(MSG_DEALLOC_VGPRS)
	s_endpgm
	.section	.rodata,"a",@progbits
	.p2align	6, 0x0
	.amdhsa_kernel _Z33tail_segmented_warp_reduce_kernelI6__halfhLj64ELj16EENSt9enable_ifIXsr10test_utilsE35device_test_enabled_for_warp_size_vIXT2_EEEvE4typeEPT_PT0_S5_
		.amdhsa_group_segment_fixed_size 0
		.amdhsa_private_segment_fixed_size 0
		.amdhsa_kernarg_size 280
		.amdhsa_user_sgpr_count 15
		.amdhsa_user_sgpr_dispatch_ptr 0
		.amdhsa_user_sgpr_queue_ptr 0
		.amdhsa_user_sgpr_kernarg_segment_ptr 1
		.amdhsa_user_sgpr_dispatch_id 0
		.amdhsa_user_sgpr_private_segment_size 0
		.amdhsa_wavefront_size32 1
		.amdhsa_uses_dynamic_stack 0
		.amdhsa_enable_private_segment 0
		.amdhsa_system_sgpr_workgroup_id_x 1
		.amdhsa_system_sgpr_workgroup_id_y 0
		.amdhsa_system_sgpr_workgroup_id_z 0
		.amdhsa_system_sgpr_workgroup_info 0
		.amdhsa_system_vgpr_workitem_id 0
		.amdhsa_next_free_vgpr 14
		.amdhsa_next_free_sgpr 16
		.amdhsa_reserve_vcc 1
		.amdhsa_float_round_mode_32 0
		.amdhsa_float_round_mode_16_64 0
		.amdhsa_float_denorm_mode_32 3
		.amdhsa_float_denorm_mode_16_64 3
		.amdhsa_dx10_clamp 1
		.amdhsa_ieee_mode 1
		.amdhsa_fp16_overflow 0
		.amdhsa_workgroup_processor_mode 1
		.amdhsa_memory_ordered 1
		.amdhsa_forward_progress 0
		.amdhsa_shared_vgpr_count 0
		.amdhsa_exception_fp_ieee_invalid_op 0
		.amdhsa_exception_fp_denorm_src 0
		.amdhsa_exception_fp_ieee_div_zero 0
		.amdhsa_exception_fp_ieee_overflow 0
		.amdhsa_exception_fp_ieee_underflow 0
		.amdhsa_exception_fp_ieee_inexact 0
		.amdhsa_exception_int_div_zero 0
	.end_amdhsa_kernel
	.section	.text._Z33tail_segmented_warp_reduce_kernelI6__halfhLj64ELj16EENSt9enable_ifIXsr10test_utilsE35device_test_enabled_for_warp_size_vIXT2_EEEvE4typeEPT_PT0_S5_,"axG",@progbits,_Z33tail_segmented_warp_reduce_kernelI6__halfhLj64ELj16EENSt9enable_ifIXsr10test_utilsE35device_test_enabled_for_warp_size_vIXT2_EEEvE4typeEPT_PT0_S5_,comdat
.Lfunc_end225:
	.size	_Z33tail_segmented_warp_reduce_kernelI6__halfhLj64ELj16EENSt9enable_ifIXsr10test_utilsE35device_test_enabled_for_warp_size_vIXT2_EEEvE4typeEPT_PT0_S5_, .Lfunc_end225-_Z33tail_segmented_warp_reduce_kernelI6__halfhLj64ELj16EENSt9enable_ifIXsr10test_utilsE35device_test_enabled_for_warp_size_vIXT2_EEEvE4typeEPT_PT0_S5_
                                        ; -- End function
	.section	.AMDGPU.csdata,"",@progbits
; Kernel info:
; codeLenInByte = 520
; NumSgprs: 18
; NumVgprs: 14
; ScratchSize: 0
; MemoryBound: 0
; FloatMode: 240
; IeeeMode: 1
; LDSByteSize: 0 bytes/workgroup (compile time only)
; SGPRBlocks: 2
; VGPRBlocks: 1
; NumSGPRsForWavesPerEU: 18
; NumVGPRsForWavesPerEU: 14
; Occupancy: 16
; WaveLimiterHint : 0
; COMPUTE_PGM_RSRC2:SCRATCH_EN: 0
; COMPUTE_PGM_RSRC2:USER_SGPR: 15
; COMPUTE_PGM_RSRC2:TRAP_HANDLER: 0
; COMPUTE_PGM_RSRC2:TGID_X_EN: 1
; COMPUTE_PGM_RSRC2:TGID_Y_EN: 0
; COMPUTE_PGM_RSRC2:TGID_Z_EN: 0
; COMPUTE_PGM_RSRC2:TIDIG_COMP_CNT: 0
	.section	.text._Z33tail_segmented_warp_reduce_kernelI6__halfhLj32ELj8EENSt9enable_ifIXsr10test_utilsE35device_test_enabled_for_warp_size_vIXT2_EEEvE4typeEPT_PT0_S5_,"axG",@progbits,_Z33tail_segmented_warp_reduce_kernelI6__halfhLj32ELj8EENSt9enable_ifIXsr10test_utilsE35device_test_enabled_for_warp_size_vIXT2_EEEvE4typeEPT_PT0_S5_,comdat
	.protected	_Z33tail_segmented_warp_reduce_kernelI6__halfhLj32ELj8EENSt9enable_ifIXsr10test_utilsE35device_test_enabled_for_warp_size_vIXT2_EEEvE4typeEPT_PT0_S5_ ; -- Begin function _Z33tail_segmented_warp_reduce_kernelI6__halfhLj32ELj8EENSt9enable_ifIXsr10test_utilsE35device_test_enabled_for_warp_size_vIXT2_EEEvE4typeEPT_PT0_S5_
	.globl	_Z33tail_segmented_warp_reduce_kernelI6__halfhLj32ELj8EENSt9enable_ifIXsr10test_utilsE35device_test_enabled_for_warp_size_vIXT2_EEEvE4typeEPT_PT0_S5_
	.p2align	8
	.type	_Z33tail_segmented_warp_reduce_kernelI6__halfhLj32ELj8EENSt9enable_ifIXsr10test_utilsE35device_test_enabled_for_warp_size_vIXT2_EEEvE4typeEPT_PT0_S5_,@function
_Z33tail_segmented_warp_reduce_kernelI6__halfhLj32ELj8EENSt9enable_ifIXsr10test_utilsE35device_test_enabled_for_warp_size_vIXT2_EEEvE4typeEPT_PT0_S5_: ; @_Z33tail_segmented_warp_reduce_kernelI6__halfhLj32ELj8EENSt9enable_ifIXsr10test_utilsE35device_test_enabled_for_warp_size_vIXT2_EEEvE4typeEPT_PT0_S5_
; %bb.0:
	s_clause 0x1
	s_load_b32 s2, s[0:1], 0x24
	s_load_b128 s[4:7], s[0:1], 0x0
	s_waitcnt lgkmcnt(0)
	s_and_b32 s2, s2, 0xffff
	s_delay_alu instid0(SALU_CYCLE_1) | instskip(SKIP_2) | instid1(VALU_DEP_1)
	v_mad_u64_u32 v[1:2], null, s15, s2, v[0:1]
	v_mov_b32_e32 v2, 0
	s_load_b64 s[2:3], s[0:1], 0x10
	v_lshlrev_b64 v[2:3], 1, v[1:2]
	s_delay_alu instid0(VALU_DEP_1) | instskip(NEXT) | instid1(VALU_DEP_2)
	v_add_co_u32 v4, vcc_lo, s4, v2
	v_add_co_ci_u32_e32 v5, vcc_lo, s5, v3, vcc_lo
	global_load_u16 v0, v[4:5], off
	global_load_u8 v1, v1, s[6:7]
	v_mbcnt_lo_u32_b32 v4, -1, 0
	s_delay_alu instid0(VALU_DEP_1) | instskip(SKIP_1) | instid1(VALU_DEP_2)
	v_and_b32_e32 v5, 7, v4
	v_lshlrev_b32_e64 v8, v4, -1
	v_cmp_ne_u32_e32 vcc_lo, 7, v5
	v_cmp_gt_u32_e64 s0, 4, v5
	v_add_nc_u32_e32 v11, 2, v5
	v_add_co_ci_u32_e32 v6, vcc_lo, 0, v4, vcc_lo
	s_delay_alu instid0(VALU_DEP_3) | instskip(NEXT) | instid1(VALU_DEP_1)
	v_cndmask_b32_e64 v10, 0, 1, s0
	v_lshlrev_b32_e32 v10, 2, v10
	s_waitcnt vmcnt(0)
	v_cmp_ne_u16_e32 vcc_lo, 0, v1
	v_and_b32_e32 v1, 24, v4
	v_and_b32_e32 v8, vcc_lo, v8
	v_cmp_gt_u32_e32 vcc_lo, 6, v5
	s_delay_alu instid0(VALU_DEP_2) | instskip(SKIP_1) | instid1(VALU_DEP_2)
	v_lshrrev_b32_e32 v1, v1, v8
	v_cndmask_b32_e64 v8, 0, 1, vcc_lo
	v_or_b32_e32 v1, 0x80, v1
	s_delay_alu instid0(VALU_DEP_2) | instskip(NEXT) | instid1(VALU_DEP_2)
	v_lshlrev_b32_e32 v8, 1, v8
	v_ctz_i32_b32_e32 v1, v1
	s_delay_alu instid0(VALU_DEP_2) | instskip(SKIP_1) | instid1(VALU_DEP_3)
	v_add_lshl_u32 v8, v8, v4, 2
	v_add_lshl_u32 v4, v10, v4, 2
	v_cmp_lt_u32_e32 vcc_lo, v5, v1
	v_and_b32_e32 v7, 0xffff, v0
	v_lshlrev_b32_e32 v6, 2, v6
	v_cmp_gt_u32_e64 s0, v11, v1
	v_add_nc_u32_e32 v5, 4, v5
	ds_bpermute_b32 v6, v6, v7
	s_waitcnt lgkmcnt(0)
	v_add_f16_e32 v6, v0, v6
	s_delay_alu instid0(VALU_DEP_1) | instskip(NEXT) | instid1(VALU_DEP_1)
	v_and_b32_e32 v9, 0xffff, v6
	v_cndmask_b32_e32 v7, v7, v9, vcc_lo
	v_cndmask_b32_e32 v9, v0, v6, vcc_lo
	ds_bpermute_b32 v8, v8, v7
	s_waitcnt lgkmcnt(0)
	v_add_f16_e32 v8, v8, v9
	s_delay_alu instid0(VALU_DEP_1) | instskip(SKIP_1) | instid1(VALU_DEP_2)
	v_and_b32_e32 v12, 0xffff, v8
	v_cndmask_b32_e64 v6, v8, v6, s0
	v_cndmask_b32_e64 v7, v12, v7, s0
	s_delay_alu instid0(VALU_DEP_2) | instskip(SKIP_4) | instid1(VALU_DEP_1)
	v_cndmask_b32_e32 v0, v0, v6, vcc_lo
	v_cmp_gt_u32_e32 vcc_lo, v5, v1
	ds_bpermute_b32 v4, v4, v7
	v_cndmask_b32_e64 v7, v8, v9, s0
	s_waitcnt lgkmcnt(0)
	v_add_f16_e32 v4, v4, v7
	s_delay_alu instid0(VALU_DEP_1)
	v_cndmask_b32_e32 v4, v4, v0, vcc_lo
	v_add_co_u32 v0, vcc_lo, s2, v2
	v_add_co_ci_u32_e32 v1, vcc_lo, s3, v3, vcc_lo
	global_store_b16 v[0:1], v4, off
	s_nop 0
	s_sendmsg sendmsg(MSG_DEALLOC_VGPRS)
	s_endpgm
	.section	.rodata,"a",@progbits
	.p2align	6, 0x0
	.amdhsa_kernel _Z33tail_segmented_warp_reduce_kernelI6__halfhLj32ELj8EENSt9enable_ifIXsr10test_utilsE35device_test_enabled_for_warp_size_vIXT2_EEEvE4typeEPT_PT0_S5_
		.amdhsa_group_segment_fixed_size 0
		.amdhsa_private_segment_fixed_size 0
		.amdhsa_kernarg_size 280
		.amdhsa_user_sgpr_count 15
		.amdhsa_user_sgpr_dispatch_ptr 0
		.amdhsa_user_sgpr_queue_ptr 0
		.amdhsa_user_sgpr_kernarg_segment_ptr 1
		.amdhsa_user_sgpr_dispatch_id 0
		.amdhsa_user_sgpr_private_segment_size 0
		.amdhsa_wavefront_size32 1
		.amdhsa_uses_dynamic_stack 0
		.amdhsa_enable_private_segment 0
		.amdhsa_system_sgpr_workgroup_id_x 1
		.amdhsa_system_sgpr_workgroup_id_y 0
		.amdhsa_system_sgpr_workgroup_id_z 0
		.amdhsa_system_sgpr_workgroup_info 0
		.amdhsa_system_vgpr_workitem_id 0
		.amdhsa_next_free_vgpr 13
		.amdhsa_next_free_sgpr 16
		.amdhsa_reserve_vcc 1
		.amdhsa_float_round_mode_32 0
		.amdhsa_float_round_mode_16_64 0
		.amdhsa_float_denorm_mode_32 3
		.amdhsa_float_denorm_mode_16_64 3
		.amdhsa_dx10_clamp 1
		.amdhsa_ieee_mode 1
		.amdhsa_fp16_overflow 0
		.amdhsa_workgroup_processor_mode 1
		.amdhsa_memory_ordered 1
		.amdhsa_forward_progress 0
		.amdhsa_shared_vgpr_count 0
		.amdhsa_exception_fp_ieee_invalid_op 0
		.amdhsa_exception_fp_denorm_src 0
		.amdhsa_exception_fp_ieee_div_zero 0
		.amdhsa_exception_fp_ieee_overflow 0
		.amdhsa_exception_fp_ieee_underflow 0
		.amdhsa_exception_fp_ieee_inexact 0
		.amdhsa_exception_int_div_zero 0
	.end_amdhsa_kernel
	.section	.text._Z33tail_segmented_warp_reduce_kernelI6__halfhLj32ELj8EENSt9enable_ifIXsr10test_utilsE35device_test_enabled_for_warp_size_vIXT2_EEEvE4typeEPT_PT0_S5_,"axG",@progbits,_Z33tail_segmented_warp_reduce_kernelI6__halfhLj32ELj8EENSt9enable_ifIXsr10test_utilsE35device_test_enabled_for_warp_size_vIXT2_EEEvE4typeEPT_PT0_S5_,comdat
.Lfunc_end226:
	.size	_Z33tail_segmented_warp_reduce_kernelI6__halfhLj32ELj8EENSt9enable_ifIXsr10test_utilsE35device_test_enabled_for_warp_size_vIXT2_EEEvE4typeEPT_PT0_S5_, .Lfunc_end226-_Z33tail_segmented_warp_reduce_kernelI6__halfhLj32ELj8EENSt9enable_ifIXsr10test_utilsE35device_test_enabled_for_warp_size_vIXT2_EEEvE4typeEPT_PT0_S5_
                                        ; -- End function
	.section	.AMDGPU.csdata,"",@progbits
; Kernel info:
; codeLenInByte = 416
; NumSgprs: 18
; NumVgprs: 13
; ScratchSize: 0
; MemoryBound: 0
; FloatMode: 240
; IeeeMode: 1
; LDSByteSize: 0 bytes/workgroup (compile time only)
; SGPRBlocks: 2
; VGPRBlocks: 1
; NumSGPRsForWavesPerEU: 18
; NumVGPRsForWavesPerEU: 13
; Occupancy: 16
; WaveLimiterHint : 0
; COMPUTE_PGM_RSRC2:SCRATCH_EN: 0
; COMPUTE_PGM_RSRC2:USER_SGPR: 15
; COMPUTE_PGM_RSRC2:TRAP_HANDLER: 0
; COMPUTE_PGM_RSRC2:TGID_X_EN: 1
; COMPUTE_PGM_RSRC2:TGID_Y_EN: 0
; COMPUTE_PGM_RSRC2:TGID_Z_EN: 0
; COMPUTE_PGM_RSRC2:TIDIG_COMP_CNT: 0
	.section	.text._Z33tail_segmented_warp_reduce_kernelI6__halfhLj64ELj8EENSt9enable_ifIXsr10test_utilsE35device_test_enabled_for_warp_size_vIXT2_EEEvE4typeEPT_PT0_S5_,"axG",@progbits,_Z33tail_segmented_warp_reduce_kernelI6__halfhLj64ELj8EENSt9enable_ifIXsr10test_utilsE35device_test_enabled_for_warp_size_vIXT2_EEEvE4typeEPT_PT0_S5_,comdat
	.protected	_Z33tail_segmented_warp_reduce_kernelI6__halfhLj64ELj8EENSt9enable_ifIXsr10test_utilsE35device_test_enabled_for_warp_size_vIXT2_EEEvE4typeEPT_PT0_S5_ ; -- Begin function _Z33tail_segmented_warp_reduce_kernelI6__halfhLj64ELj8EENSt9enable_ifIXsr10test_utilsE35device_test_enabled_for_warp_size_vIXT2_EEEvE4typeEPT_PT0_S5_
	.globl	_Z33tail_segmented_warp_reduce_kernelI6__halfhLj64ELj8EENSt9enable_ifIXsr10test_utilsE35device_test_enabled_for_warp_size_vIXT2_EEEvE4typeEPT_PT0_S5_
	.p2align	8
	.type	_Z33tail_segmented_warp_reduce_kernelI6__halfhLj64ELj8EENSt9enable_ifIXsr10test_utilsE35device_test_enabled_for_warp_size_vIXT2_EEEvE4typeEPT_PT0_S5_,@function
_Z33tail_segmented_warp_reduce_kernelI6__halfhLj64ELj8EENSt9enable_ifIXsr10test_utilsE35device_test_enabled_for_warp_size_vIXT2_EEEvE4typeEPT_PT0_S5_: ; @_Z33tail_segmented_warp_reduce_kernelI6__halfhLj64ELj8EENSt9enable_ifIXsr10test_utilsE35device_test_enabled_for_warp_size_vIXT2_EEEvE4typeEPT_PT0_S5_
; %bb.0:
	s_clause 0x1
	s_load_b32 s2, s[0:1], 0x24
	s_load_b128 s[4:7], s[0:1], 0x0
	s_waitcnt lgkmcnt(0)
	s_and_b32 s2, s2, 0xffff
	s_delay_alu instid0(SALU_CYCLE_1) | instskip(SKIP_2) | instid1(VALU_DEP_1)
	v_mad_u64_u32 v[1:2], null, s15, s2, v[0:1]
	v_mov_b32_e32 v2, 0
	s_load_b64 s[2:3], s[0:1], 0x10
	v_lshlrev_b64 v[2:3], 1, v[1:2]
	s_delay_alu instid0(VALU_DEP_1) | instskip(NEXT) | instid1(VALU_DEP_2)
	v_add_co_u32 v4, vcc_lo, s4, v2
	v_add_co_ci_u32_e32 v5, vcc_lo, s5, v3, vcc_lo
	global_load_u16 v0, v[4:5], off
	global_load_u8 v1, v1, s[6:7]
	v_mbcnt_lo_u32_b32 v4, -1, 0
	s_delay_alu instid0(VALU_DEP_1) | instskip(SKIP_1) | instid1(VALU_DEP_2)
	v_and_b32_e32 v5, 7, v4
	v_lshlrev_b32_e64 v8, v4, -1
	v_cmp_ne_u32_e32 vcc_lo, 7, v5
	v_cmp_gt_u32_e64 s0, 4, v5
	v_add_nc_u32_e32 v11, 2, v5
	v_add_co_ci_u32_e32 v6, vcc_lo, 0, v4, vcc_lo
	s_delay_alu instid0(VALU_DEP_3) | instskip(NEXT) | instid1(VALU_DEP_1)
	v_cndmask_b32_e64 v10, 0, 1, s0
	v_lshlrev_b32_e32 v10, 2, v10
	s_waitcnt vmcnt(0)
	v_cmp_ne_u16_e32 vcc_lo, 0, v1
	v_and_b32_e32 v1, 24, v4
	v_and_b32_e32 v8, vcc_lo, v8
	v_cmp_gt_u32_e32 vcc_lo, 6, v5
	s_delay_alu instid0(VALU_DEP_2) | instskip(SKIP_1) | instid1(VALU_DEP_2)
	v_lshrrev_b32_e32 v1, v1, v8
	v_cndmask_b32_e64 v8, 0, 1, vcc_lo
	v_or_b32_e32 v1, 0x80, v1
	s_delay_alu instid0(VALU_DEP_2) | instskip(NEXT) | instid1(VALU_DEP_2)
	v_lshlrev_b32_e32 v8, 1, v8
	v_ctz_i32_b32_e32 v1, v1
	s_delay_alu instid0(VALU_DEP_2) | instskip(SKIP_1) | instid1(VALU_DEP_3)
	v_add_lshl_u32 v8, v8, v4, 2
	v_add_lshl_u32 v4, v10, v4, 2
	v_cmp_lt_u32_e32 vcc_lo, v5, v1
	v_and_b32_e32 v7, 0xffff, v0
	v_lshlrev_b32_e32 v6, 2, v6
	v_cmp_gt_u32_e64 s0, v11, v1
	v_add_nc_u32_e32 v5, 4, v5
	ds_bpermute_b32 v6, v6, v7
	s_waitcnt lgkmcnt(0)
	v_add_f16_e32 v6, v0, v6
	s_delay_alu instid0(VALU_DEP_1) | instskip(NEXT) | instid1(VALU_DEP_1)
	v_and_b32_e32 v9, 0xffff, v6
	v_cndmask_b32_e32 v7, v7, v9, vcc_lo
	v_cndmask_b32_e32 v9, v0, v6, vcc_lo
	ds_bpermute_b32 v8, v8, v7
	s_waitcnt lgkmcnt(0)
	v_add_f16_e32 v8, v8, v9
	s_delay_alu instid0(VALU_DEP_1) | instskip(SKIP_1) | instid1(VALU_DEP_2)
	v_and_b32_e32 v12, 0xffff, v8
	v_cndmask_b32_e64 v6, v8, v6, s0
	v_cndmask_b32_e64 v7, v12, v7, s0
	s_delay_alu instid0(VALU_DEP_2) | instskip(SKIP_4) | instid1(VALU_DEP_1)
	v_cndmask_b32_e32 v0, v0, v6, vcc_lo
	v_cmp_gt_u32_e32 vcc_lo, v5, v1
	ds_bpermute_b32 v4, v4, v7
	v_cndmask_b32_e64 v7, v8, v9, s0
	s_waitcnt lgkmcnt(0)
	v_add_f16_e32 v4, v4, v7
	s_delay_alu instid0(VALU_DEP_1)
	v_cndmask_b32_e32 v4, v4, v0, vcc_lo
	v_add_co_u32 v0, vcc_lo, s2, v2
	v_add_co_ci_u32_e32 v1, vcc_lo, s3, v3, vcc_lo
	global_store_b16 v[0:1], v4, off
	s_nop 0
	s_sendmsg sendmsg(MSG_DEALLOC_VGPRS)
	s_endpgm
	.section	.rodata,"a",@progbits
	.p2align	6, 0x0
	.amdhsa_kernel _Z33tail_segmented_warp_reduce_kernelI6__halfhLj64ELj8EENSt9enable_ifIXsr10test_utilsE35device_test_enabled_for_warp_size_vIXT2_EEEvE4typeEPT_PT0_S5_
		.amdhsa_group_segment_fixed_size 0
		.amdhsa_private_segment_fixed_size 0
		.amdhsa_kernarg_size 280
		.amdhsa_user_sgpr_count 15
		.amdhsa_user_sgpr_dispatch_ptr 0
		.amdhsa_user_sgpr_queue_ptr 0
		.amdhsa_user_sgpr_kernarg_segment_ptr 1
		.amdhsa_user_sgpr_dispatch_id 0
		.amdhsa_user_sgpr_private_segment_size 0
		.amdhsa_wavefront_size32 1
		.amdhsa_uses_dynamic_stack 0
		.amdhsa_enable_private_segment 0
		.amdhsa_system_sgpr_workgroup_id_x 1
		.amdhsa_system_sgpr_workgroup_id_y 0
		.amdhsa_system_sgpr_workgroup_id_z 0
		.amdhsa_system_sgpr_workgroup_info 0
		.amdhsa_system_vgpr_workitem_id 0
		.amdhsa_next_free_vgpr 13
		.amdhsa_next_free_sgpr 16
		.amdhsa_reserve_vcc 1
		.amdhsa_float_round_mode_32 0
		.amdhsa_float_round_mode_16_64 0
		.amdhsa_float_denorm_mode_32 3
		.amdhsa_float_denorm_mode_16_64 3
		.amdhsa_dx10_clamp 1
		.amdhsa_ieee_mode 1
		.amdhsa_fp16_overflow 0
		.amdhsa_workgroup_processor_mode 1
		.amdhsa_memory_ordered 1
		.amdhsa_forward_progress 0
		.amdhsa_shared_vgpr_count 0
		.amdhsa_exception_fp_ieee_invalid_op 0
		.amdhsa_exception_fp_denorm_src 0
		.amdhsa_exception_fp_ieee_div_zero 0
		.amdhsa_exception_fp_ieee_overflow 0
		.amdhsa_exception_fp_ieee_underflow 0
		.amdhsa_exception_fp_ieee_inexact 0
		.amdhsa_exception_int_div_zero 0
	.end_amdhsa_kernel
	.section	.text._Z33tail_segmented_warp_reduce_kernelI6__halfhLj64ELj8EENSt9enable_ifIXsr10test_utilsE35device_test_enabled_for_warp_size_vIXT2_EEEvE4typeEPT_PT0_S5_,"axG",@progbits,_Z33tail_segmented_warp_reduce_kernelI6__halfhLj64ELj8EENSt9enable_ifIXsr10test_utilsE35device_test_enabled_for_warp_size_vIXT2_EEEvE4typeEPT_PT0_S5_,comdat
.Lfunc_end227:
	.size	_Z33tail_segmented_warp_reduce_kernelI6__halfhLj64ELj8EENSt9enable_ifIXsr10test_utilsE35device_test_enabled_for_warp_size_vIXT2_EEEvE4typeEPT_PT0_S5_, .Lfunc_end227-_Z33tail_segmented_warp_reduce_kernelI6__halfhLj64ELj8EENSt9enable_ifIXsr10test_utilsE35device_test_enabled_for_warp_size_vIXT2_EEEvE4typeEPT_PT0_S5_
                                        ; -- End function
	.section	.AMDGPU.csdata,"",@progbits
; Kernel info:
; codeLenInByte = 416
; NumSgprs: 18
; NumVgprs: 13
; ScratchSize: 0
; MemoryBound: 0
; FloatMode: 240
; IeeeMode: 1
; LDSByteSize: 0 bytes/workgroup (compile time only)
; SGPRBlocks: 2
; VGPRBlocks: 1
; NumSGPRsForWavesPerEU: 18
; NumVGPRsForWavesPerEU: 13
; Occupancy: 16
; WaveLimiterHint : 0
; COMPUTE_PGM_RSRC2:SCRATCH_EN: 0
; COMPUTE_PGM_RSRC2:USER_SGPR: 15
; COMPUTE_PGM_RSRC2:TRAP_HANDLER: 0
; COMPUTE_PGM_RSRC2:TGID_X_EN: 1
; COMPUTE_PGM_RSRC2:TGID_Y_EN: 0
; COMPUTE_PGM_RSRC2:TGID_Z_EN: 0
; COMPUTE_PGM_RSRC2:TIDIG_COMP_CNT: 0
	.section	.text._Z33tail_segmented_warp_reduce_kernelI6__halfhLj32ELj4EENSt9enable_ifIXsr10test_utilsE35device_test_enabled_for_warp_size_vIXT2_EEEvE4typeEPT_PT0_S5_,"axG",@progbits,_Z33tail_segmented_warp_reduce_kernelI6__halfhLj32ELj4EENSt9enable_ifIXsr10test_utilsE35device_test_enabled_for_warp_size_vIXT2_EEEvE4typeEPT_PT0_S5_,comdat
	.protected	_Z33tail_segmented_warp_reduce_kernelI6__halfhLj32ELj4EENSt9enable_ifIXsr10test_utilsE35device_test_enabled_for_warp_size_vIXT2_EEEvE4typeEPT_PT0_S5_ ; -- Begin function _Z33tail_segmented_warp_reduce_kernelI6__halfhLj32ELj4EENSt9enable_ifIXsr10test_utilsE35device_test_enabled_for_warp_size_vIXT2_EEEvE4typeEPT_PT0_S5_
	.globl	_Z33tail_segmented_warp_reduce_kernelI6__halfhLj32ELj4EENSt9enable_ifIXsr10test_utilsE35device_test_enabled_for_warp_size_vIXT2_EEEvE4typeEPT_PT0_S5_
	.p2align	8
	.type	_Z33tail_segmented_warp_reduce_kernelI6__halfhLj32ELj4EENSt9enable_ifIXsr10test_utilsE35device_test_enabled_for_warp_size_vIXT2_EEEvE4typeEPT_PT0_S5_,@function
_Z33tail_segmented_warp_reduce_kernelI6__halfhLj32ELj4EENSt9enable_ifIXsr10test_utilsE35device_test_enabled_for_warp_size_vIXT2_EEEvE4typeEPT_PT0_S5_: ; @_Z33tail_segmented_warp_reduce_kernelI6__halfhLj32ELj4EENSt9enable_ifIXsr10test_utilsE35device_test_enabled_for_warp_size_vIXT2_EEEvE4typeEPT_PT0_S5_
; %bb.0:
	s_clause 0x1
	s_load_b32 s2, s[0:1], 0x24
	s_load_b128 s[4:7], s[0:1], 0x0
	s_waitcnt lgkmcnt(0)
	s_and_b32 s2, s2, 0xffff
	s_delay_alu instid0(SALU_CYCLE_1) | instskip(SKIP_2) | instid1(VALU_DEP_1)
	v_mad_u64_u32 v[1:2], null, s15, s2, v[0:1]
	v_mov_b32_e32 v2, 0
	s_load_b64 s[2:3], s[0:1], 0x10
	v_lshlrev_b64 v[2:3], 1, v[1:2]
	s_delay_alu instid0(VALU_DEP_1) | instskip(NEXT) | instid1(VALU_DEP_2)
	v_add_co_u32 v4, vcc_lo, s4, v2
	v_add_co_ci_u32_e32 v5, vcc_lo, s5, v3, vcc_lo
	global_load_u16 v0, v[4:5], off
	global_load_u8 v1, v1, s[6:7]
	v_mbcnt_lo_u32_b32 v4, -1, 0
	s_delay_alu instid0(VALU_DEP_1) | instskip(SKIP_1) | instid1(VALU_DEP_2)
	v_and_b32_e32 v5, 3, v4
	v_lshlrev_b32_e64 v8, v4, -1
	v_cmp_ne_u32_e32 vcc_lo, 3, v5
	v_add_co_ci_u32_e32 v6, vcc_lo, 0, v4, vcc_lo
	s_waitcnt vmcnt(0)
	v_cmp_ne_u16_e32 vcc_lo, 0, v1
	v_and_b32_e32 v1, 28, v4
	v_and_b32_e32 v8, vcc_lo, v8
	v_cmp_gt_u32_e32 vcc_lo, 2, v5
	s_delay_alu instid0(VALU_DEP_2) | instskip(SKIP_1) | instid1(VALU_DEP_2)
	v_lshrrev_b32_e32 v1, v1, v8
	v_cndmask_b32_e64 v8, 0, 1, vcc_lo
	v_or_b32_e32 v1, 8, v1
	s_delay_alu instid0(VALU_DEP_2) | instskip(NEXT) | instid1(VALU_DEP_2)
	v_lshlrev_b32_e32 v8, 1, v8
	v_ctz_i32_b32_e32 v1, v1
	s_delay_alu instid0(VALU_DEP_2) | instskip(NEXT) | instid1(VALU_DEP_2)
	v_add_lshl_u32 v4, v8, v4, 2
	v_cmp_lt_u32_e32 vcc_lo, v5, v1
	v_and_b32_e32 v7, 0xffff, v0
	v_lshlrev_b32_e32 v6, 2, v6
	v_add_nc_u32_e32 v5, 2, v5
	ds_bpermute_b32 v6, v6, v7
	v_cmp_gt_u32_e64 s0, v5, v1
	s_waitcnt lgkmcnt(0)
	v_add_f16_e32 v6, v0, v6
	s_delay_alu instid0(VALU_DEP_1) | instskip(NEXT) | instid1(VALU_DEP_1)
	v_and_b32_e32 v9, 0xffff, v6
	v_cndmask_b32_e32 v7, v7, v9, vcc_lo
	ds_bpermute_b32 v4, v4, v7
	s_waitcnt lgkmcnt(0)
	v_add_f16_e32 v4, v6, v4
	s_delay_alu instid0(VALU_DEP_1) | instskip(NEXT) | instid1(VALU_DEP_1)
	v_cndmask_b32_e64 v1, v4, v6, s0
	v_cndmask_b32_e32 v4, v0, v1, vcc_lo
	v_add_co_u32 v0, vcc_lo, s2, v2
	v_add_co_ci_u32_e32 v1, vcc_lo, s3, v3, vcc_lo
	global_store_b16 v[0:1], v4, off
	s_nop 0
	s_sendmsg sendmsg(MSG_DEALLOC_VGPRS)
	s_endpgm
	.section	.rodata,"a",@progbits
	.p2align	6, 0x0
	.amdhsa_kernel _Z33tail_segmented_warp_reduce_kernelI6__halfhLj32ELj4EENSt9enable_ifIXsr10test_utilsE35device_test_enabled_for_warp_size_vIXT2_EEEvE4typeEPT_PT0_S5_
		.amdhsa_group_segment_fixed_size 0
		.amdhsa_private_segment_fixed_size 0
		.amdhsa_kernarg_size 280
		.amdhsa_user_sgpr_count 15
		.amdhsa_user_sgpr_dispatch_ptr 0
		.amdhsa_user_sgpr_queue_ptr 0
		.amdhsa_user_sgpr_kernarg_segment_ptr 1
		.amdhsa_user_sgpr_dispatch_id 0
		.amdhsa_user_sgpr_private_segment_size 0
		.amdhsa_wavefront_size32 1
		.amdhsa_uses_dynamic_stack 0
		.amdhsa_enable_private_segment 0
		.amdhsa_system_sgpr_workgroup_id_x 1
		.amdhsa_system_sgpr_workgroup_id_y 0
		.amdhsa_system_sgpr_workgroup_id_z 0
		.amdhsa_system_sgpr_workgroup_info 0
		.amdhsa_system_vgpr_workitem_id 0
		.amdhsa_next_free_vgpr 10
		.amdhsa_next_free_sgpr 16
		.amdhsa_reserve_vcc 1
		.amdhsa_float_round_mode_32 0
		.amdhsa_float_round_mode_16_64 0
		.amdhsa_float_denorm_mode_32 3
		.amdhsa_float_denorm_mode_16_64 3
		.amdhsa_dx10_clamp 1
		.amdhsa_ieee_mode 1
		.amdhsa_fp16_overflow 0
		.amdhsa_workgroup_processor_mode 1
		.amdhsa_memory_ordered 1
		.amdhsa_forward_progress 0
		.amdhsa_shared_vgpr_count 0
		.amdhsa_exception_fp_ieee_invalid_op 0
		.amdhsa_exception_fp_denorm_src 0
		.amdhsa_exception_fp_ieee_div_zero 0
		.amdhsa_exception_fp_ieee_overflow 0
		.amdhsa_exception_fp_ieee_underflow 0
		.amdhsa_exception_fp_ieee_inexact 0
		.amdhsa_exception_int_div_zero 0
	.end_amdhsa_kernel
	.section	.text._Z33tail_segmented_warp_reduce_kernelI6__halfhLj32ELj4EENSt9enable_ifIXsr10test_utilsE35device_test_enabled_for_warp_size_vIXT2_EEEvE4typeEPT_PT0_S5_,"axG",@progbits,_Z33tail_segmented_warp_reduce_kernelI6__halfhLj32ELj4EENSt9enable_ifIXsr10test_utilsE35device_test_enabled_for_warp_size_vIXT2_EEEvE4typeEPT_PT0_S5_,comdat
.Lfunc_end228:
	.size	_Z33tail_segmented_warp_reduce_kernelI6__halfhLj32ELj4EENSt9enable_ifIXsr10test_utilsE35device_test_enabled_for_warp_size_vIXT2_EEEvE4typeEPT_PT0_S5_, .Lfunc_end228-_Z33tail_segmented_warp_reduce_kernelI6__halfhLj32ELj4EENSt9enable_ifIXsr10test_utilsE35device_test_enabled_for_warp_size_vIXT2_EEEvE4typeEPT_PT0_S5_
                                        ; -- End function
	.section	.AMDGPU.csdata,"",@progbits
; Kernel info:
; codeLenInByte = 316
; NumSgprs: 18
; NumVgprs: 10
; ScratchSize: 0
; MemoryBound: 0
; FloatMode: 240
; IeeeMode: 1
; LDSByteSize: 0 bytes/workgroup (compile time only)
; SGPRBlocks: 2
; VGPRBlocks: 1
; NumSGPRsForWavesPerEU: 18
; NumVGPRsForWavesPerEU: 10
; Occupancy: 16
; WaveLimiterHint : 0
; COMPUTE_PGM_RSRC2:SCRATCH_EN: 0
; COMPUTE_PGM_RSRC2:USER_SGPR: 15
; COMPUTE_PGM_RSRC2:TRAP_HANDLER: 0
; COMPUTE_PGM_RSRC2:TGID_X_EN: 1
; COMPUTE_PGM_RSRC2:TGID_Y_EN: 0
; COMPUTE_PGM_RSRC2:TGID_Z_EN: 0
; COMPUTE_PGM_RSRC2:TIDIG_COMP_CNT: 0
	.section	.text._Z33tail_segmented_warp_reduce_kernelI6__halfhLj64ELj4EENSt9enable_ifIXsr10test_utilsE35device_test_enabled_for_warp_size_vIXT2_EEEvE4typeEPT_PT0_S5_,"axG",@progbits,_Z33tail_segmented_warp_reduce_kernelI6__halfhLj64ELj4EENSt9enable_ifIXsr10test_utilsE35device_test_enabled_for_warp_size_vIXT2_EEEvE4typeEPT_PT0_S5_,comdat
	.protected	_Z33tail_segmented_warp_reduce_kernelI6__halfhLj64ELj4EENSt9enable_ifIXsr10test_utilsE35device_test_enabled_for_warp_size_vIXT2_EEEvE4typeEPT_PT0_S5_ ; -- Begin function _Z33tail_segmented_warp_reduce_kernelI6__halfhLj64ELj4EENSt9enable_ifIXsr10test_utilsE35device_test_enabled_for_warp_size_vIXT2_EEEvE4typeEPT_PT0_S5_
	.globl	_Z33tail_segmented_warp_reduce_kernelI6__halfhLj64ELj4EENSt9enable_ifIXsr10test_utilsE35device_test_enabled_for_warp_size_vIXT2_EEEvE4typeEPT_PT0_S5_
	.p2align	8
	.type	_Z33tail_segmented_warp_reduce_kernelI6__halfhLj64ELj4EENSt9enable_ifIXsr10test_utilsE35device_test_enabled_for_warp_size_vIXT2_EEEvE4typeEPT_PT0_S5_,@function
_Z33tail_segmented_warp_reduce_kernelI6__halfhLj64ELj4EENSt9enable_ifIXsr10test_utilsE35device_test_enabled_for_warp_size_vIXT2_EEEvE4typeEPT_PT0_S5_: ; @_Z33tail_segmented_warp_reduce_kernelI6__halfhLj64ELj4EENSt9enable_ifIXsr10test_utilsE35device_test_enabled_for_warp_size_vIXT2_EEEvE4typeEPT_PT0_S5_
; %bb.0:
	s_clause 0x1
	s_load_b32 s2, s[0:1], 0x24
	s_load_b128 s[4:7], s[0:1], 0x0
	s_waitcnt lgkmcnt(0)
	s_and_b32 s2, s2, 0xffff
	s_delay_alu instid0(SALU_CYCLE_1) | instskip(SKIP_2) | instid1(VALU_DEP_1)
	v_mad_u64_u32 v[1:2], null, s15, s2, v[0:1]
	v_mov_b32_e32 v2, 0
	s_load_b64 s[2:3], s[0:1], 0x10
	v_lshlrev_b64 v[2:3], 1, v[1:2]
	s_delay_alu instid0(VALU_DEP_1) | instskip(NEXT) | instid1(VALU_DEP_2)
	v_add_co_u32 v4, vcc_lo, s4, v2
	v_add_co_ci_u32_e32 v5, vcc_lo, s5, v3, vcc_lo
	global_load_u16 v0, v[4:5], off
	global_load_u8 v1, v1, s[6:7]
	v_mbcnt_lo_u32_b32 v4, -1, 0
	s_delay_alu instid0(VALU_DEP_1) | instskip(SKIP_1) | instid1(VALU_DEP_2)
	v_and_b32_e32 v5, 3, v4
	v_lshlrev_b32_e64 v8, v4, -1
	v_cmp_ne_u32_e32 vcc_lo, 3, v5
	v_add_co_ci_u32_e32 v6, vcc_lo, 0, v4, vcc_lo
	s_waitcnt vmcnt(0)
	v_cmp_ne_u16_e32 vcc_lo, 0, v1
	v_and_b32_e32 v1, 28, v4
	v_and_b32_e32 v8, vcc_lo, v8
	v_cmp_gt_u32_e32 vcc_lo, 2, v5
	s_delay_alu instid0(VALU_DEP_2) | instskip(SKIP_1) | instid1(VALU_DEP_2)
	v_lshrrev_b32_e32 v1, v1, v8
	v_cndmask_b32_e64 v8, 0, 1, vcc_lo
	v_or_b32_e32 v1, 8, v1
	s_delay_alu instid0(VALU_DEP_2) | instskip(NEXT) | instid1(VALU_DEP_2)
	v_lshlrev_b32_e32 v8, 1, v8
	v_ctz_i32_b32_e32 v1, v1
	s_delay_alu instid0(VALU_DEP_2) | instskip(NEXT) | instid1(VALU_DEP_2)
	v_add_lshl_u32 v4, v8, v4, 2
	v_cmp_lt_u32_e32 vcc_lo, v5, v1
	v_and_b32_e32 v7, 0xffff, v0
	v_lshlrev_b32_e32 v6, 2, v6
	v_add_nc_u32_e32 v5, 2, v5
	ds_bpermute_b32 v6, v6, v7
	v_cmp_gt_u32_e64 s0, v5, v1
	s_waitcnt lgkmcnt(0)
	v_add_f16_e32 v6, v0, v6
	s_delay_alu instid0(VALU_DEP_1) | instskip(NEXT) | instid1(VALU_DEP_1)
	v_and_b32_e32 v9, 0xffff, v6
	v_cndmask_b32_e32 v7, v7, v9, vcc_lo
	ds_bpermute_b32 v4, v4, v7
	s_waitcnt lgkmcnt(0)
	v_add_f16_e32 v4, v6, v4
	s_delay_alu instid0(VALU_DEP_1) | instskip(NEXT) | instid1(VALU_DEP_1)
	v_cndmask_b32_e64 v1, v4, v6, s0
	v_cndmask_b32_e32 v4, v0, v1, vcc_lo
	v_add_co_u32 v0, vcc_lo, s2, v2
	v_add_co_ci_u32_e32 v1, vcc_lo, s3, v3, vcc_lo
	global_store_b16 v[0:1], v4, off
	s_nop 0
	s_sendmsg sendmsg(MSG_DEALLOC_VGPRS)
	s_endpgm
	.section	.rodata,"a",@progbits
	.p2align	6, 0x0
	.amdhsa_kernel _Z33tail_segmented_warp_reduce_kernelI6__halfhLj64ELj4EENSt9enable_ifIXsr10test_utilsE35device_test_enabled_for_warp_size_vIXT2_EEEvE4typeEPT_PT0_S5_
		.amdhsa_group_segment_fixed_size 0
		.amdhsa_private_segment_fixed_size 0
		.amdhsa_kernarg_size 280
		.amdhsa_user_sgpr_count 15
		.amdhsa_user_sgpr_dispatch_ptr 0
		.amdhsa_user_sgpr_queue_ptr 0
		.amdhsa_user_sgpr_kernarg_segment_ptr 1
		.amdhsa_user_sgpr_dispatch_id 0
		.amdhsa_user_sgpr_private_segment_size 0
		.amdhsa_wavefront_size32 1
		.amdhsa_uses_dynamic_stack 0
		.amdhsa_enable_private_segment 0
		.amdhsa_system_sgpr_workgroup_id_x 1
		.amdhsa_system_sgpr_workgroup_id_y 0
		.amdhsa_system_sgpr_workgroup_id_z 0
		.amdhsa_system_sgpr_workgroup_info 0
		.amdhsa_system_vgpr_workitem_id 0
		.amdhsa_next_free_vgpr 10
		.amdhsa_next_free_sgpr 16
		.amdhsa_reserve_vcc 1
		.amdhsa_float_round_mode_32 0
		.amdhsa_float_round_mode_16_64 0
		.amdhsa_float_denorm_mode_32 3
		.amdhsa_float_denorm_mode_16_64 3
		.amdhsa_dx10_clamp 1
		.amdhsa_ieee_mode 1
		.amdhsa_fp16_overflow 0
		.amdhsa_workgroup_processor_mode 1
		.amdhsa_memory_ordered 1
		.amdhsa_forward_progress 0
		.amdhsa_shared_vgpr_count 0
		.amdhsa_exception_fp_ieee_invalid_op 0
		.amdhsa_exception_fp_denorm_src 0
		.amdhsa_exception_fp_ieee_div_zero 0
		.amdhsa_exception_fp_ieee_overflow 0
		.amdhsa_exception_fp_ieee_underflow 0
		.amdhsa_exception_fp_ieee_inexact 0
		.amdhsa_exception_int_div_zero 0
	.end_amdhsa_kernel
	.section	.text._Z33tail_segmented_warp_reduce_kernelI6__halfhLj64ELj4EENSt9enable_ifIXsr10test_utilsE35device_test_enabled_for_warp_size_vIXT2_EEEvE4typeEPT_PT0_S5_,"axG",@progbits,_Z33tail_segmented_warp_reduce_kernelI6__halfhLj64ELj4EENSt9enable_ifIXsr10test_utilsE35device_test_enabled_for_warp_size_vIXT2_EEEvE4typeEPT_PT0_S5_,comdat
.Lfunc_end229:
	.size	_Z33tail_segmented_warp_reduce_kernelI6__halfhLj64ELj4EENSt9enable_ifIXsr10test_utilsE35device_test_enabled_for_warp_size_vIXT2_EEEvE4typeEPT_PT0_S5_, .Lfunc_end229-_Z33tail_segmented_warp_reduce_kernelI6__halfhLj64ELj4EENSt9enable_ifIXsr10test_utilsE35device_test_enabled_for_warp_size_vIXT2_EEEvE4typeEPT_PT0_S5_
                                        ; -- End function
	.section	.AMDGPU.csdata,"",@progbits
; Kernel info:
; codeLenInByte = 316
; NumSgprs: 18
; NumVgprs: 10
; ScratchSize: 0
; MemoryBound: 0
; FloatMode: 240
; IeeeMode: 1
; LDSByteSize: 0 bytes/workgroup (compile time only)
; SGPRBlocks: 2
; VGPRBlocks: 1
; NumSGPRsForWavesPerEU: 18
; NumVGPRsForWavesPerEU: 10
; Occupancy: 16
; WaveLimiterHint : 0
; COMPUTE_PGM_RSRC2:SCRATCH_EN: 0
; COMPUTE_PGM_RSRC2:USER_SGPR: 15
; COMPUTE_PGM_RSRC2:TRAP_HANDLER: 0
; COMPUTE_PGM_RSRC2:TGID_X_EN: 1
; COMPUTE_PGM_RSRC2:TGID_Y_EN: 0
; COMPUTE_PGM_RSRC2:TGID_Z_EN: 0
; COMPUTE_PGM_RSRC2:TIDIG_COMP_CNT: 0
	.section	.text._Z33tail_segmented_warp_reduce_kernelI6__halfhLj32ELj2EENSt9enable_ifIXsr10test_utilsE35device_test_enabled_for_warp_size_vIXT2_EEEvE4typeEPT_PT0_S5_,"axG",@progbits,_Z33tail_segmented_warp_reduce_kernelI6__halfhLj32ELj2EENSt9enable_ifIXsr10test_utilsE35device_test_enabled_for_warp_size_vIXT2_EEEvE4typeEPT_PT0_S5_,comdat
	.protected	_Z33tail_segmented_warp_reduce_kernelI6__halfhLj32ELj2EENSt9enable_ifIXsr10test_utilsE35device_test_enabled_for_warp_size_vIXT2_EEEvE4typeEPT_PT0_S5_ ; -- Begin function _Z33tail_segmented_warp_reduce_kernelI6__halfhLj32ELj2EENSt9enable_ifIXsr10test_utilsE35device_test_enabled_for_warp_size_vIXT2_EEEvE4typeEPT_PT0_S5_
	.globl	_Z33tail_segmented_warp_reduce_kernelI6__halfhLj32ELj2EENSt9enable_ifIXsr10test_utilsE35device_test_enabled_for_warp_size_vIXT2_EEEvE4typeEPT_PT0_S5_
	.p2align	8
	.type	_Z33tail_segmented_warp_reduce_kernelI6__halfhLj32ELj2EENSt9enable_ifIXsr10test_utilsE35device_test_enabled_for_warp_size_vIXT2_EEEvE4typeEPT_PT0_S5_,@function
_Z33tail_segmented_warp_reduce_kernelI6__halfhLj32ELj2EENSt9enable_ifIXsr10test_utilsE35device_test_enabled_for_warp_size_vIXT2_EEEvE4typeEPT_PT0_S5_: ; @_Z33tail_segmented_warp_reduce_kernelI6__halfhLj32ELj2EENSt9enable_ifIXsr10test_utilsE35device_test_enabled_for_warp_size_vIXT2_EEEvE4typeEPT_PT0_S5_
; %bb.0:
	s_clause 0x2
	s_load_b32 s2, s[0:1], 0x24
	s_load_b128 s[4:7], s[0:1], 0x0
	s_load_b64 s[0:1], s[0:1], 0x10
	s_waitcnt lgkmcnt(0)
	s_and_b32 s2, s2, 0xffff
	s_delay_alu instid0(SALU_CYCLE_1) | instskip(SKIP_1) | instid1(VALU_DEP_1)
	v_mad_u64_u32 v[1:2], null, s15, s2, v[0:1]
	v_mov_b32_e32 v2, 0
	v_lshlrev_b64 v[2:3], 1, v[1:2]
	s_delay_alu instid0(VALU_DEP_1) | instskip(NEXT) | instid1(VALU_DEP_2)
	v_add_co_u32 v4, vcc_lo, s4, v2
	v_add_co_ci_u32_e32 v5, vcc_lo, s5, v3, vcc_lo
	global_load_u16 v0, v[4:5], off
	global_load_u8 v1, v1, s[6:7]
	v_mbcnt_lo_u32_b32 v4, -1, 0
	s_delay_alu instid0(VALU_DEP_1)
	v_lshl_or_b32 v5, v4, 2, 4
	v_lshlrev_b32_e64 v7, v4, -1
	s_waitcnt vmcnt(1)
	v_and_b32_e32 v6, 0xffff, v0
	s_waitcnt vmcnt(0)
	v_cmp_ne_u16_e32 vcc_lo, 0, v1
	ds_bpermute_b32 v1, v5, v6
	v_and_b32_e32 v5, 30, v4
	v_and_b32_e32 v6, vcc_lo, v7
	v_and_b32_e32 v4, 1, v4
	s_delay_alu instid0(VALU_DEP_2) | instskip(NEXT) | instid1(VALU_DEP_1)
	v_lshrrev_b32_e32 v5, v5, v6
	v_or_b32_e32 v5, 2, v5
	s_delay_alu instid0(VALU_DEP_1) | instskip(SKIP_2) | instid1(VALU_DEP_2)
	v_ctz_i32_b32_e32 v5, v5
	s_waitcnt lgkmcnt(0)
	v_add_f16_e32 v1, v0, v1
	v_cmp_lt_u32_e32 vcc_lo, v4, v5
	s_delay_alu instid0(VALU_DEP_2)
	v_cndmask_b32_e32 v4, v0, v1, vcc_lo
	v_add_co_u32 v0, vcc_lo, s0, v2
	v_add_co_ci_u32_e32 v1, vcc_lo, s1, v3, vcc_lo
	global_store_b16 v[0:1], v4, off
	s_nop 0
	s_sendmsg sendmsg(MSG_DEALLOC_VGPRS)
	s_endpgm
	.section	.rodata,"a",@progbits
	.p2align	6, 0x0
	.amdhsa_kernel _Z33tail_segmented_warp_reduce_kernelI6__halfhLj32ELj2EENSt9enable_ifIXsr10test_utilsE35device_test_enabled_for_warp_size_vIXT2_EEEvE4typeEPT_PT0_S5_
		.amdhsa_group_segment_fixed_size 0
		.amdhsa_private_segment_fixed_size 0
		.amdhsa_kernarg_size 280
		.amdhsa_user_sgpr_count 15
		.amdhsa_user_sgpr_dispatch_ptr 0
		.amdhsa_user_sgpr_queue_ptr 0
		.amdhsa_user_sgpr_kernarg_segment_ptr 1
		.amdhsa_user_sgpr_dispatch_id 0
		.amdhsa_user_sgpr_private_segment_size 0
		.amdhsa_wavefront_size32 1
		.amdhsa_uses_dynamic_stack 0
		.amdhsa_enable_private_segment 0
		.amdhsa_system_sgpr_workgroup_id_x 1
		.amdhsa_system_sgpr_workgroup_id_y 0
		.amdhsa_system_sgpr_workgroup_id_z 0
		.amdhsa_system_sgpr_workgroup_info 0
		.amdhsa_system_vgpr_workitem_id 0
		.amdhsa_next_free_vgpr 8
		.amdhsa_next_free_sgpr 16
		.amdhsa_reserve_vcc 1
		.amdhsa_float_round_mode_32 0
		.amdhsa_float_round_mode_16_64 0
		.amdhsa_float_denorm_mode_32 3
		.amdhsa_float_denorm_mode_16_64 3
		.amdhsa_dx10_clamp 1
		.amdhsa_ieee_mode 1
		.amdhsa_fp16_overflow 0
		.amdhsa_workgroup_processor_mode 1
		.amdhsa_memory_ordered 1
		.amdhsa_forward_progress 0
		.amdhsa_shared_vgpr_count 0
		.amdhsa_exception_fp_ieee_invalid_op 0
		.amdhsa_exception_fp_denorm_src 0
		.amdhsa_exception_fp_ieee_div_zero 0
		.amdhsa_exception_fp_ieee_overflow 0
		.amdhsa_exception_fp_ieee_underflow 0
		.amdhsa_exception_fp_ieee_inexact 0
		.amdhsa_exception_int_div_zero 0
	.end_amdhsa_kernel
	.section	.text._Z33tail_segmented_warp_reduce_kernelI6__halfhLj32ELj2EENSt9enable_ifIXsr10test_utilsE35device_test_enabled_for_warp_size_vIXT2_EEEvE4typeEPT_PT0_S5_,"axG",@progbits,_Z33tail_segmented_warp_reduce_kernelI6__halfhLj32ELj2EENSt9enable_ifIXsr10test_utilsE35device_test_enabled_for_warp_size_vIXT2_EEEvE4typeEPT_PT0_S5_,comdat
.Lfunc_end230:
	.size	_Z33tail_segmented_warp_reduce_kernelI6__halfhLj32ELj2EENSt9enable_ifIXsr10test_utilsE35device_test_enabled_for_warp_size_vIXT2_EEEvE4typeEPT_PT0_S5_, .Lfunc_end230-_Z33tail_segmented_warp_reduce_kernelI6__halfhLj32ELj2EENSt9enable_ifIXsr10test_utilsE35device_test_enabled_for_warp_size_vIXT2_EEEvE4typeEPT_PT0_S5_
                                        ; -- End function
	.section	.AMDGPU.csdata,"",@progbits
; Kernel info:
; codeLenInByte = 236
; NumSgprs: 18
; NumVgprs: 8
; ScratchSize: 0
; MemoryBound: 0
; FloatMode: 240
; IeeeMode: 1
; LDSByteSize: 0 bytes/workgroup (compile time only)
; SGPRBlocks: 2
; VGPRBlocks: 0
; NumSGPRsForWavesPerEU: 18
; NumVGPRsForWavesPerEU: 8
; Occupancy: 16
; WaveLimiterHint : 0
; COMPUTE_PGM_RSRC2:SCRATCH_EN: 0
; COMPUTE_PGM_RSRC2:USER_SGPR: 15
; COMPUTE_PGM_RSRC2:TRAP_HANDLER: 0
; COMPUTE_PGM_RSRC2:TGID_X_EN: 1
; COMPUTE_PGM_RSRC2:TGID_Y_EN: 0
; COMPUTE_PGM_RSRC2:TGID_Z_EN: 0
; COMPUTE_PGM_RSRC2:TIDIG_COMP_CNT: 0
	.section	.text._Z33tail_segmented_warp_reduce_kernelI6__halfhLj64ELj2EENSt9enable_ifIXsr10test_utilsE35device_test_enabled_for_warp_size_vIXT2_EEEvE4typeEPT_PT0_S5_,"axG",@progbits,_Z33tail_segmented_warp_reduce_kernelI6__halfhLj64ELj2EENSt9enable_ifIXsr10test_utilsE35device_test_enabled_for_warp_size_vIXT2_EEEvE4typeEPT_PT0_S5_,comdat
	.protected	_Z33tail_segmented_warp_reduce_kernelI6__halfhLj64ELj2EENSt9enable_ifIXsr10test_utilsE35device_test_enabled_for_warp_size_vIXT2_EEEvE4typeEPT_PT0_S5_ ; -- Begin function _Z33tail_segmented_warp_reduce_kernelI6__halfhLj64ELj2EENSt9enable_ifIXsr10test_utilsE35device_test_enabled_for_warp_size_vIXT2_EEEvE4typeEPT_PT0_S5_
	.globl	_Z33tail_segmented_warp_reduce_kernelI6__halfhLj64ELj2EENSt9enable_ifIXsr10test_utilsE35device_test_enabled_for_warp_size_vIXT2_EEEvE4typeEPT_PT0_S5_
	.p2align	8
	.type	_Z33tail_segmented_warp_reduce_kernelI6__halfhLj64ELj2EENSt9enable_ifIXsr10test_utilsE35device_test_enabled_for_warp_size_vIXT2_EEEvE4typeEPT_PT0_S5_,@function
_Z33tail_segmented_warp_reduce_kernelI6__halfhLj64ELj2EENSt9enable_ifIXsr10test_utilsE35device_test_enabled_for_warp_size_vIXT2_EEEvE4typeEPT_PT0_S5_: ; @_Z33tail_segmented_warp_reduce_kernelI6__halfhLj64ELj2EENSt9enable_ifIXsr10test_utilsE35device_test_enabled_for_warp_size_vIXT2_EEEvE4typeEPT_PT0_S5_
; %bb.0:
	s_clause 0x2
	s_load_b32 s2, s[0:1], 0x24
	s_load_b128 s[4:7], s[0:1], 0x0
	s_load_b64 s[0:1], s[0:1], 0x10
	s_waitcnt lgkmcnt(0)
	s_and_b32 s2, s2, 0xffff
	s_delay_alu instid0(SALU_CYCLE_1) | instskip(SKIP_1) | instid1(VALU_DEP_1)
	v_mad_u64_u32 v[1:2], null, s15, s2, v[0:1]
	v_mov_b32_e32 v2, 0
	v_lshlrev_b64 v[2:3], 1, v[1:2]
	s_delay_alu instid0(VALU_DEP_1) | instskip(NEXT) | instid1(VALU_DEP_2)
	v_add_co_u32 v4, vcc_lo, s4, v2
	v_add_co_ci_u32_e32 v5, vcc_lo, s5, v3, vcc_lo
	global_load_u16 v0, v[4:5], off
	global_load_u8 v1, v1, s[6:7]
	v_mbcnt_lo_u32_b32 v4, -1, 0
	s_delay_alu instid0(VALU_DEP_1)
	v_lshl_or_b32 v5, v4, 2, 4
	v_lshlrev_b32_e64 v7, v4, -1
	s_waitcnt vmcnt(1)
	v_and_b32_e32 v6, 0xffff, v0
	s_waitcnt vmcnt(0)
	v_cmp_ne_u16_e32 vcc_lo, 0, v1
	ds_bpermute_b32 v1, v5, v6
	v_and_b32_e32 v5, 30, v4
	v_and_b32_e32 v6, vcc_lo, v7
	v_and_b32_e32 v4, 1, v4
	s_delay_alu instid0(VALU_DEP_2) | instskip(NEXT) | instid1(VALU_DEP_1)
	v_lshrrev_b32_e32 v5, v5, v6
	v_or_b32_e32 v5, 2, v5
	s_delay_alu instid0(VALU_DEP_1) | instskip(SKIP_2) | instid1(VALU_DEP_2)
	v_ctz_i32_b32_e32 v5, v5
	s_waitcnt lgkmcnt(0)
	v_add_f16_e32 v1, v0, v1
	v_cmp_lt_u32_e32 vcc_lo, v4, v5
	s_delay_alu instid0(VALU_DEP_2)
	v_cndmask_b32_e32 v4, v0, v1, vcc_lo
	v_add_co_u32 v0, vcc_lo, s0, v2
	v_add_co_ci_u32_e32 v1, vcc_lo, s1, v3, vcc_lo
	global_store_b16 v[0:1], v4, off
	s_nop 0
	s_sendmsg sendmsg(MSG_DEALLOC_VGPRS)
	s_endpgm
	.section	.rodata,"a",@progbits
	.p2align	6, 0x0
	.amdhsa_kernel _Z33tail_segmented_warp_reduce_kernelI6__halfhLj64ELj2EENSt9enable_ifIXsr10test_utilsE35device_test_enabled_for_warp_size_vIXT2_EEEvE4typeEPT_PT0_S5_
		.amdhsa_group_segment_fixed_size 0
		.amdhsa_private_segment_fixed_size 0
		.amdhsa_kernarg_size 280
		.amdhsa_user_sgpr_count 15
		.amdhsa_user_sgpr_dispatch_ptr 0
		.amdhsa_user_sgpr_queue_ptr 0
		.amdhsa_user_sgpr_kernarg_segment_ptr 1
		.amdhsa_user_sgpr_dispatch_id 0
		.amdhsa_user_sgpr_private_segment_size 0
		.amdhsa_wavefront_size32 1
		.amdhsa_uses_dynamic_stack 0
		.amdhsa_enable_private_segment 0
		.amdhsa_system_sgpr_workgroup_id_x 1
		.amdhsa_system_sgpr_workgroup_id_y 0
		.amdhsa_system_sgpr_workgroup_id_z 0
		.amdhsa_system_sgpr_workgroup_info 0
		.amdhsa_system_vgpr_workitem_id 0
		.amdhsa_next_free_vgpr 8
		.amdhsa_next_free_sgpr 16
		.amdhsa_reserve_vcc 1
		.amdhsa_float_round_mode_32 0
		.amdhsa_float_round_mode_16_64 0
		.amdhsa_float_denorm_mode_32 3
		.amdhsa_float_denorm_mode_16_64 3
		.amdhsa_dx10_clamp 1
		.amdhsa_ieee_mode 1
		.amdhsa_fp16_overflow 0
		.amdhsa_workgroup_processor_mode 1
		.amdhsa_memory_ordered 1
		.amdhsa_forward_progress 0
		.amdhsa_shared_vgpr_count 0
		.amdhsa_exception_fp_ieee_invalid_op 0
		.amdhsa_exception_fp_denorm_src 0
		.amdhsa_exception_fp_ieee_div_zero 0
		.amdhsa_exception_fp_ieee_overflow 0
		.amdhsa_exception_fp_ieee_underflow 0
		.amdhsa_exception_fp_ieee_inexact 0
		.amdhsa_exception_int_div_zero 0
	.end_amdhsa_kernel
	.section	.text._Z33tail_segmented_warp_reduce_kernelI6__halfhLj64ELj2EENSt9enable_ifIXsr10test_utilsE35device_test_enabled_for_warp_size_vIXT2_EEEvE4typeEPT_PT0_S5_,"axG",@progbits,_Z33tail_segmented_warp_reduce_kernelI6__halfhLj64ELj2EENSt9enable_ifIXsr10test_utilsE35device_test_enabled_for_warp_size_vIXT2_EEEvE4typeEPT_PT0_S5_,comdat
.Lfunc_end231:
	.size	_Z33tail_segmented_warp_reduce_kernelI6__halfhLj64ELj2EENSt9enable_ifIXsr10test_utilsE35device_test_enabled_for_warp_size_vIXT2_EEEvE4typeEPT_PT0_S5_, .Lfunc_end231-_Z33tail_segmented_warp_reduce_kernelI6__halfhLj64ELj2EENSt9enable_ifIXsr10test_utilsE35device_test_enabled_for_warp_size_vIXT2_EEEvE4typeEPT_PT0_S5_
                                        ; -- End function
	.section	.AMDGPU.csdata,"",@progbits
; Kernel info:
; codeLenInByte = 236
; NumSgprs: 18
; NumVgprs: 8
; ScratchSize: 0
; MemoryBound: 0
; FloatMode: 240
; IeeeMode: 1
; LDSByteSize: 0 bytes/workgroup (compile time only)
; SGPRBlocks: 2
; VGPRBlocks: 0
; NumSGPRsForWavesPerEU: 18
; NumVGPRsForWavesPerEU: 8
; Occupancy: 16
; WaveLimiterHint : 0
; COMPUTE_PGM_RSRC2:SCRATCH_EN: 0
; COMPUTE_PGM_RSRC2:USER_SGPR: 15
; COMPUTE_PGM_RSRC2:TRAP_HANDLER: 0
; COMPUTE_PGM_RSRC2:TGID_X_EN: 1
; COMPUTE_PGM_RSRC2:TGID_Y_EN: 0
; COMPUTE_PGM_RSRC2:TGID_Z_EN: 0
; COMPUTE_PGM_RSRC2:TIDIG_COMP_CNT: 0
	.section	.text._Z33tail_segmented_warp_reduce_kernelI6__halfhLj32ELj1EENSt9enable_ifIXsr10test_utilsE35device_test_enabled_for_warp_size_vIXT2_EEEvE4typeEPT_PT0_S5_,"axG",@progbits,_Z33tail_segmented_warp_reduce_kernelI6__halfhLj32ELj1EENSt9enable_ifIXsr10test_utilsE35device_test_enabled_for_warp_size_vIXT2_EEEvE4typeEPT_PT0_S5_,comdat
	.protected	_Z33tail_segmented_warp_reduce_kernelI6__halfhLj32ELj1EENSt9enable_ifIXsr10test_utilsE35device_test_enabled_for_warp_size_vIXT2_EEEvE4typeEPT_PT0_S5_ ; -- Begin function _Z33tail_segmented_warp_reduce_kernelI6__halfhLj32ELj1EENSt9enable_ifIXsr10test_utilsE35device_test_enabled_for_warp_size_vIXT2_EEEvE4typeEPT_PT0_S5_
	.globl	_Z33tail_segmented_warp_reduce_kernelI6__halfhLj32ELj1EENSt9enable_ifIXsr10test_utilsE35device_test_enabled_for_warp_size_vIXT2_EEEvE4typeEPT_PT0_S5_
	.p2align	8
	.type	_Z33tail_segmented_warp_reduce_kernelI6__halfhLj32ELj1EENSt9enable_ifIXsr10test_utilsE35device_test_enabled_for_warp_size_vIXT2_EEEvE4typeEPT_PT0_S5_,@function
_Z33tail_segmented_warp_reduce_kernelI6__halfhLj32ELj1EENSt9enable_ifIXsr10test_utilsE35device_test_enabled_for_warp_size_vIXT2_EEEvE4typeEPT_PT0_S5_: ; @_Z33tail_segmented_warp_reduce_kernelI6__halfhLj32ELj1EENSt9enable_ifIXsr10test_utilsE35device_test_enabled_for_warp_size_vIXT2_EEEvE4typeEPT_PT0_S5_
; %bb.0:
	s_clause 0x2
	s_load_b32 s4, s[0:1], 0x24
	s_load_b64 s[2:3], s[0:1], 0x0
	s_load_b64 s[0:1], s[0:1], 0x10
	s_waitcnt lgkmcnt(0)
	s_and_b32 s4, s4, 0xffff
	s_delay_alu instid0(SALU_CYCLE_1) | instskip(SKIP_1) | instid1(VALU_DEP_1)
	v_mad_u64_u32 v[1:2], null, s15, s4, v[0:1]
	v_mov_b32_e32 v2, 0
	v_lshlrev_b64 v[0:1], 1, v[1:2]
	s_delay_alu instid0(VALU_DEP_1) | instskip(NEXT) | instid1(VALU_DEP_2)
	v_add_co_u32 v2, vcc_lo, s2, v0
	v_add_co_ci_u32_e32 v3, vcc_lo, s3, v1, vcc_lo
	v_add_co_u32 v0, vcc_lo, s0, v0
	v_add_co_ci_u32_e32 v1, vcc_lo, s1, v1, vcc_lo
	global_load_u16 v2, v[2:3], off
	s_waitcnt vmcnt(0)
	global_store_b16 v[0:1], v2, off
	s_nop 0
	s_sendmsg sendmsg(MSG_DEALLOC_VGPRS)
	s_endpgm
	.section	.rodata,"a",@progbits
	.p2align	6, 0x0
	.amdhsa_kernel _Z33tail_segmented_warp_reduce_kernelI6__halfhLj32ELj1EENSt9enable_ifIXsr10test_utilsE35device_test_enabled_for_warp_size_vIXT2_EEEvE4typeEPT_PT0_S5_
		.amdhsa_group_segment_fixed_size 0
		.amdhsa_private_segment_fixed_size 0
		.amdhsa_kernarg_size 280
		.amdhsa_user_sgpr_count 15
		.amdhsa_user_sgpr_dispatch_ptr 0
		.amdhsa_user_sgpr_queue_ptr 0
		.amdhsa_user_sgpr_kernarg_segment_ptr 1
		.amdhsa_user_sgpr_dispatch_id 0
		.amdhsa_user_sgpr_private_segment_size 0
		.amdhsa_wavefront_size32 1
		.amdhsa_uses_dynamic_stack 0
		.amdhsa_enable_private_segment 0
		.amdhsa_system_sgpr_workgroup_id_x 1
		.amdhsa_system_sgpr_workgroup_id_y 0
		.amdhsa_system_sgpr_workgroup_id_z 0
		.amdhsa_system_sgpr_workgroup_info 0
		.amdhsa_system_vgpr_workitem_id 0
		.amdhsa_next_free_vgpr 4
		.amdhsa_next_free_sgpr 16
		.amdhsa_reserve_vcc 1
		.amdhsa_float_round_mode_32 0
		.amdhsa_float_round_mode_16_64 0
		.amdhsa_float_denorm_mode_32 3
		.amdhsa_float_denorm_mode_16_64 3
		.amdhsa_dx10_clamp 1
		.amdhsa_ieee_mode 1
		.amdhsa_fp16_overflow 0
		.amdhsa_workgroup_processor_mode 1
		.amdhsa_memory_ordered 1
		.amdhsa_forward_progress 0
		.amdhsa_shared_vgpr_count 0
		.amdhsa_exception_fp_ieee_invalid_op 0
		.amdhsa_exception_fp_denorm_src 0
		.amdhsa_exception_fp_ieee_div_zero 0
		.amdhsa_exception_fp_ieee_overflow 0
		.amdhsa_exception_fp_ieee_underflow 0
		.amdhsa_exception_fp_ieee_inexact 0
		.amdhsa_exception_int_div_zero 0
	.end_amdhsa_kernel
	.section	.text._Z33tail_segmented_warp_reduce_kernelI6__halfhLj32ELj1EENSt9enable_ifIXsr10test_utilsE35device_test_enabled_for_warp_size_vIXT2_EEEvE4typeEPT_PT0_S5_,"axG",@progbits,_Z33tail_segmented_warp_reduce_kernelI6__halfhLj32ELj1EENSt9enable_ifIXsr10test_utilsE35device_test_enabled_for_warp_size_vIXT2_EEEvE4typeEPT_PT0_S5_,comdat
.Lfunc_end232:
	.size	_Z33tail_segmented_warp_reduce_kernelI6__halfhLj32ELj1EENSt9enable_ifIXsr10test_utilsE35device_test_enabled_for_warp_size_vIXT2_EEEvE4typeEPT_PT0_S5_, .Lfunc_end232-_Z33tail_segmented_warp_reduce_kernelI6__halfhLj32ELj1EENSt9enable_ifIXsr10test_utilsE35device_test_enabled_for_warp_size_vIXT2_EEEvE4typeEPT_PT0_S5_
                                        ; -- End function
	.section	.AMDGPU.csdata,"",@progbits
; Kernel info:
; codeLenInByte = 124
; NumSgprs: 18
; NumVgprs: 4
; ScratchSize: 0
; MemoryBound: 0
; FloatMode: 240
; IeeeMode: 1
; LDSByteSize: 0 bytes/workgroup (compile time only)
; SGPRBlocks: 2
; VGPRBlocks: 0
; NumSGPRsForWavesPerEU: 18
; NumVGPRsForWavesPerEU: 4
; Occupancy: 16
; WaveLimiterHint : 0
; COMPUTE_PGM_RSRC2:SCRATCH_EN: 0
; COMPUTE_PGM_RSRC2:USER_SGPR: 15
; COMPUTE_PGM_RSRC2:TRAP_HANDLER: 0
; COMPUTE_PGM_RSRC2:TGID_X_EN: 1
; COMPUTE_PGM_RSRC2:TGID_Y_EN: 0
; COMPUTE_PGM_RSRC2:TGID_Z_EN: 0
; COMPUTE_PGM_RSRC2:TIDIG_COMP_CNT: 0
	.section	.text._Z33tail_segmented_warp_reduce_kernelI6__halfhLj64ELj1EENSt9enable_ifIXsr10test_utilsE35device_test_enabled_for_warp_size_vIXT2_EEEvE4typeEPT_PT0_S5_,"axG",@progbits,_Z33tail_segmented_warp_reduce_kernelI6__halfhLj64ELj1EENSt9enable_ifIXsr10test_utilsE35device_test_enabled_for_warp_size_vIXT2_EEEvE4typeEPT_PT0_S5_,comdat
	.protected	_Z33tail_segmented_warp_reduce_kernelI6__halfhLj64ELj1EENSt9enable_ifIXsr10test_utilsE35device_test_enabled_for_warp_size_vIXT2_EEEvE4typeEPT_PT0_S5_ ; -- Begin function _Z33tail_segmented_warp_reduce_kernelI6__halfhLj64ELj1EENSt9enable_ifIXsr10test_utilsE35device_test_enabled_for_warp_size_vIXT2_EEEvE4typeEPT_PT0_S5_
	.globl	_Z33tail_segmented_warp_reduce_kernelI6__halfhLj64ELj1EENSt9enable_ifIXsr10test_utilsE35device_test_enabled_for_warp_size_vIXT2_EEEvE4typeEPT_PT0_S5_
	.p2align	8
	.type	_Z33tail_segmented_warp_reduce_kernelI6__halfhLj64ELj1EENSt9enable_ifIXsr10test_utilsE35device_test_enabled_for_warp_size_vIXT2_EEEvE4typeEPT_PT0_S5_,@function
_Z33tail_segmented_warp_reduce_kernelI6__halfhLj64ELj1EENSt9enable_ifIXsr10test_utilsE35device_test_enabled_for_warp_size_vIXT2_EEEvE4typeEPT_PT0_S5_: ; @_Z33tail_segmented_warp_reduce_kernelI6__halfhLj64ELj1EENSt9enable_ifIXsr10test_utilsE35device_test_enabled_for_warp_size_vIXT2_EEEvE4typeEPT_PT0_S5_
; %bb.0:
	s_clause 0x2
	s_load_b32 s4, s[0:1], 0x24
	s_load_b64 s[2:3], s[0:1], 0x0
	s_load_b64 s[0:1], s[0:1], 0x10
	s_waitcnt lgkmcnt(0)
	s_and_b32 s4, s4, 0xffff
	s_delay_alu instid0(SALU_CYCLE_1) | instskip(SKIP_1) | instid1(VALU_DEP_1)
	v_mad_u64_u32 v[1:2], null, s15, s4, v[0:1]
	v_mov_b32_e32 v2, 0
	v_lshlrev_b64 v[0:1], 1, v[1:2]
	s_delay_alu instid0(VALU_DEP_1) | instskip(NEXT) | instid1(VALU_DEP_2)
	v_add_co_u32 v2, vcc_lo, s2, v0
	v_add_co_ci_u32_e32 v3, vcc_lo, s3, v1, vcc_lo
	v_add_co_u32 v0, vcc_lo, s0, v0
	v_add_co_ci_u32_e32 v1, vcc_lo, s1, v1, vcc_lo
	global_load_u16 v2, v[2:3], off
	s_waitcnt vmcnt(0)
	global_store_b16 v[0:1], v2, off
	s_nop 0
	s_sendmsg sendmsg(MSG_DEALLOC_VGPRS)
	s_endpgm
	.section	.rodata,"a",@progbits
	.p2align	6, 0x0
	.amdhsa_kernel _Z33tail_segmented_warp_reduce_kernelI6__halfhLj64ELj1EENSt9enable_ifIXsr10test_utilsE35device_test_enabled_for_warp_size_vIXT2_EEEvE4typeEPT_PT0_S5_
		.amdhsa_group_segment_fixed_size 0
		.amdhsa_private_segment_fixed_size 0
		.amdhsa_kernarg_size 280
		.amdhsa_user_sgpr_count 15
		.amdhsa_user_sgpr_dispatch_ptr 0
		.amdhsa_user_sgpr_queue_ptr 0
		.amdhsa_user_sgpr_kernarg_segment_ptr 1
		.amdhsa_user_sgpr_dispatch_id 0
		.amdhsa_user_sgpr_private_segment_size 0
		.amdhsa_wavefront_size32 1
		.amdhsa_uses_dynamic_stack 0
		.amdhsa_enable_private_segment 0
		.amdhsa_system_sgpr_workgroup_id_x 1
		.amdhsa_system_sgpr_workgroup_id_y 0
		.amdhsa_system_sgpr_workgroup_id_z 0
		.amdhsa_system_sgpr_workgroup_info 0
		.amdhsa_system_vgpr_workitem_id 0
		.amdhsa_next_free_vgpr 4
		.amdhsa_next_free_sgpr 16
		.amdhsa_reserve_vcc 1
		.amdhsa_float_round_mode_32 0
		.amdhsa_float_round_mode_16_64 0
		.amdhsa_float_denorm_mode_32 3
		.amdhsa_float_denorm_mode_16_64 3
		.amdhsa_dx10_clamp 1
		.amdhsa_ieee_mode 1
		.amdhsa_fp16_overflow 0
		.amdhsa_workgroup_processor_mode 1
		.amdhsa_memory_ordered 1
		.amdhsa_forward_progress 0
		.amdhsa_shared_vgpr_count 0
		.amdhsa_exception_fp_ieee_invalid_op 0
		.amdhsa_exception_fp_denorm_src 0
		.amdhsa_exception_fp_ieee_div_zero 0
		.amdhsa_exception_fp_ieee_overflow 0
		.amdhsa_exception_fp_ieee_underflow 0
		.amdhsa_exception_fp_ieee_inexact 0
		.amdhsa_exception_int_div_zero 0
	.end_amdhsa_kernel
	.section	.text._Z33tail_segmented_warp_reduce_kernelI6__halfhLj64ELj1EENSt9enable_ifIXsr10test_utilsE35device_test_enabled_for_warp_size_vIXT2_EEEvE4typeEPT_PT0_S5_,"axG",@progbits,_Z33tail_segmented_warp_reduce_kernelI6__halfhLj64ELj1EENSt9enable_ifIXsr10test_utilsE35device_test_enabled_for_warp_size_vIXT2_EEEvE4typeEPT_PT0_S5_,comdat
.Lfunc_end233:
	.size	_Z33tail_segmented_warp_reduce_kernelI6__halfhLj64ELj1EENSt9enable_ifIXsr10test_utilsE35device_test_enabled_for_warp_size_vIXT2_EEEvE4typeEPT_PT0_S5_, .Lfunc_end233-_Z33tail_segmented_warp_reduce_kernelI6__halfhLj64ELj1EENSt9enable_ifIXsr10test_utilsE35device_test_enabled_for_warp_size_vIXT2_EEEvE4typeEPT_PT0_S5_
                                        ; -- End function
	.section	.AMDGPU.csdata,"",@progbits
; Kernel info:
; codeLenInByte = 124
; NumSgprs: 18
; NumVgprs: 4
; ScratchSize: 0
; MemoryBound: 0
; FloatMode: 240
; IeeeMode: 1
; LDSByteSize: 0 bytes/workgroup (compile time only)
; SGPRBlocks: 2
; VGPRBlocks: 0
; NumSGPRsForWavesPerEU: 18
; NumVGPRsForWavesPerEU: 4
; Occupancy: 16
; WaveLimiterHint : 0
; COMPUTE_PGM_RSRC2:SCRATCH_EN: 0
; COMPUTE_PGM_RSRC2:USER_SGPR: 15
; COMPUTE_PGM_RSRC2:TRAP_HANDLER: 0
; COMPUTE_PGM_RSRC2:TGID_X_EN: 1
; COMPUTE_PGM_RSRC2:TGID_Y_EN: 0
; COMPUTE_PGM_RSRC2:TGID_Z_EN: 0
; COMPUTE_PGM_RSRC2:TIDIG_COMP_CNT: 0
	.section	.text._Z33tail_segmented_warp_reduce_kernelIfhLj256ELj64EENSt9enable_ifIXntsr10test_utilsE35device_test_enabled_for_warp_size_vIXT2_EEEvE4typeEPT_PT0_S4_,"axG",@progbits,_Z33tail_segmented_warp_reduce_kernelIfhLj256ELj64EENSt9enable_ifIXntsr10test_utilsE35device_test_enabled_for_warp_size_vIXT2_EEEvE4typeEPT_PT0_S4_,comdat
	.protected	_Z33tail_segmented_warp_reduce_kernelIfhLj256ELj64EENSt9enable_ifIXntsr10test_utilsE35device_test_enabled_for_warp_size_vIXT2_EEEvE4typeEPT_PT0_S4_ ; -- Begin function _Z33tail_segmented_warp_reduce_kernelIfhLj256ELj64EENSt9enable_ifIXntsr10test_utilsE35device_test_enabled_for_warp_size_vIXT2_EEEvE4typeEPT_PT0_S4_
	.globl	_Z33tail_segmented_warp_reduce_kernelIfhLj256ELj64EENSt9enable_ifIXntsr10test_utilsE35device_test_enabled_for_warp_size_vIXT2_EEEvE4typeEPT_PT0_S4_
	.p2align	8
	.type	_Z33tail_segmented_warp_reduce_kernelIfhLj256ELj64EENSt9enable_ifIXntsr10test_utilsE35device_test_enabled_for_warp_size_vIXT2_EEEvE4typeEPT_PT0_S4_,@function
_Z33tail_segmented_warp_reduce_kernelIfhLj256ELj64EENSt9enable_ifIXntsr10test_utilsE35device_test_enabled_for_warp_size_vIXT2_EEEvE4typeEPT_PT0_S4_: ; @_Z33tail_segmented_warp_reduce_kernelIfhLj256ELj64EENSt9enable_ifIXntsr10test_utilsE35device_test_enabled_for_warp_size_vIXT2_EEEvE4typeEPT_PT0_S4_
; %bb.0:
	s_endpgm
	.section	.rodata,"a",@progbits
	.p2align	6, 0x0
	.amdhsa_kernel _Z33tail_segmented_warp_reduce_kernelIfhLj256ELj64EENSt9enable_ifIXntsr10test_utilsE35device_test_enabled_for_warp_size_vIXT2_EEEvE4typeEPT_PT0_S4_
		.amdhsa_group_segment_fixed_size 0
		.amdhsa_private_segment_fixed_size 0
		.amdhsa_kernarg_size 24
		.amdhsa_user_sgpr_count 15
		.amdhsa_user_sgpr_dispatch_ptr 0
		.amdhsa_user_sgpr_queue_ptr 0
		.amdhsa_user_sgpr_kernarg_segment_ptr 1
		.amdhsa_user_sgpr_dispatch_id 0
		.amdhsa_user_sgpr_private_segment_size 0
		.amdhsa_wavefront_size32 1
		.amdhsa_uses_dynamic_stack 0
		.amdhsa_enable_private_segment 0
		.amdhsa_system_sgpr_workgroup_id_x 1
		.amdhsa_system_sgpr_workgroup_id_y 0
		.amdhsa_system_sgpr_workgroup_id_z 0
		.amdhsa_system_sgpr_workgroup_info 0
		.amdhsa_system_vgpr_workitem_id 0
		.amdhsa_next_free_vgpr 1
		.amdhsa_next_free_sgpr 1
		.amdhsa_reserve_vcc 0
		.amdhsa_float_round_mode_32 0
		.amdhsa_float_round_mode_16_64 0
		.amdhsa_float_denorm_mode_32 3
		.amdhsa_float_denorm_mode_16_64 3
		.amdhsa_dx10_clamp 1
		.amdhsa_ieee_mode 1
		.amdhsa_fp16_overflow 0
		.amdhsa_workgroup_processor_mode 1
		.amdhsa_memory_ordered 1
		.amdhsa_forward_progress 0
		.amdhsa_shared_vgpr_count 0
		.amdhsa_exception_fp_ieee_invalid_op 0
		.amdhsa_exception_fp_denorm_src 0
		.amdhsa_exception_fp_ieee_div_zero 0
		.amdhsa_exception_fp_ieee_overflow 0
		.amdhsa_exception_fp_ieee_underflow 0
		.amdhsa_exception_fp_ieee_inexact 0
		.amdhsa_exception_int_div_zero 0
	.end_amdhsa_kernel
	.section	.text._Z33tail_segmented_warp_reduce_kernelIfhLj256ELj64EENSt9enable_ifIXntsr10test_utilsE35device_test_enabled_for_warp_size_vIXT2_EEEvE4typeEPT_PT0_S4_,"axG",@progbits,_Z33tail_segmented_warp_reduce_kernelIfhLj256ELj64EENSt9enable_ifIXntsr10test_utilsE35device_test_enabled_for_warp_size_vIXT2_EEEvE4typeEPT_PT0_S4_,comdat
.Lfunc_end234:
	.size	_Z33tail_segmented_warp_reduce_kernelIfhLj256ELj64EENSt9enable_ifIXntsr10test_utilsE35device_test_enabled_for_warp_size_vIXT2_EEEvE4typeEPT_PT0_S4_, .Lfunc_end234-_Z33tail_segmented_warp_reduce_kernelIfhLj256ELj64EENSt9enable_ifIXntsr10test_utilsE35device_test_enabled_for_warp_size_vIXT2_EEEvE4typeEPT_PT0_S4_
                                        ; -- End function
	.section	.AMDGPU.csdata,"",@progbits
; Kernel info:
; codeLenInByte = 4
; NumSgprs: 0
; NumVgprs: 0
; ScratchSize: 0
; MemoryBound: 0
; FloatMode: 240
; IeeeMode: 1
; LDSByteSize: 0 bytes/workgroup (compile time only)
; SGPRBlocks: 0
; VGPRBlocks: 0
; NumSGPRsForWavesPerEU: 1
; NumVGPRsForWavesPerEU: 1
; Occupancy: 16
; WaveLimiterHint : 0
; COMPUTE_PGM_RSRC2:SCRATCH_EN: 0
; COMPUTE_PGM_RSRC2:USER_SGPR: 15
; COMPUTE_PGM_RSRC2:TRAP_HANDLER: 0
; COMPUTE_PGM_RSRC2:TGID_X_EN: 1
; COMPUTE_PGM_RSRC2:TGID_Y_EN: 0
; COMPUTE_PGM_RSRC2:TGID_Z_EN: 0
; COMPUTE_PGM_RSRC2:TIDIG_COMP_CNT: 0
	.section	.text._Z33tail_segmented_warp_reduce_kernelIfhLj128ELj32EENSt9enable_ifIXsr10test_utilsE35device_test_enabled_for_warp_size_vIXT2_EEEvE4typeEPT_PT0_S4_,"axG",@progbits,_Z33tail_segmented_warp_reduce_kernelIfhLj128ELj32EENSt9enable_ifIXsr10test_utilsE35device_test_enabled_for_warp_size_vIXT2_EEEvE4typeEPT_PT0_S4_,comdat
	.protected	_Z33tail_segmented_warp_reduce_kernelIfhLj128ELj32EENSt9enable_ifIXsr10test_utilsE35device_test_enabled_for_warp_size_vIXT2_EEEvE4typeEPT_PT0_S4_ ; -- Begin function _Z33tail_segmented_warp_reduce_kernelIfhLj128ELj32EENSt9enable_ifIXsr10test_utilsE35device_test_enabled_for_warp_size_vIXT2_EEEvE4typeEPT_PT0_S4_
	.globl	_Z33tail_segmented_warp_reduce_kernelIfhLj128ELj32EENSt9enable_ifIXsr10test_utilsE35device_test_enabled_for_warp_size_vIXT2_EEEvE4typeEPT_PT0_S4_
	.p2align	8
	.type	_Z33tail_segmented_warp_reduce_kernelIfhLj128ELj32EENSt9enable_ifIXsr10test_utilsE35device_test_enabled_for_warp_size_vIXT2_EEEvE4typeEPT_PT0_S4_,@function
_Z33tail_segmented_warp_reduce_kernelIfhLj128ELj32EENSt9enable_ifIXsr10test_utilsE35device_test_enabled_for_warp_size_vIXT2_EEEvE4typeEPT_PT0_S4_: ; @_Z33tail_segmented_warp_reduce_kernelIfhLj128ELj32EENSt9enable_ifIXsr10test_utilsE35device_test_enabled_for_warp_size_vIXT2_EEEvE4typeEPT_PT0_S4_
; %bb.0:
	s_clause 0x1
	s_load_b32 s2, s[0:1], 0x24
	s_load_b128 s[4:7], s[0:1], 0x0
	s_waitcnt lgkmcnt(0)
	s_and_b32 s2, s2, 0xffff
	s_delay_alu instid0(SALU_CYCLE_1) | instskip(SKIP_2) | instid1(VALU_DEP_1)
	v_mad_u64_u32 v[1:2], null, s15, s2, v[0:1]
	v_mov_b32_e32 v2, 0
	s_load_b64 s[2:3], s[0:1], 0x10
	v_lshlrev_b64 v[2:3], 2, v[1:2]
	s_delay_alu instid0(VALU_DEP_1) | instskip(NEXT) | instid1(VALU_DEP_2)
	v_add_co_u32 v4, vcc_lo, s4, v2
	v_add_co_ci_u32_e32 v5, vcc_lo, s5, v3, vcc_lo
	global_load_b32 v0, v[4:5], off
	global_load_u8 v1, v1, s[6:7]
	v_mbcnt_lo_u32_b32 v4, -1, 0
	s_delay_alu instid0(VALU_DEP_1) | instskip(SKIP_4) | instid1(VALU_DEP_1)
	v_cmp_ne_u32_e32 vcc_lo, 31, v4
	v_lshlrev_b32_e64 v6, v4, -1
	v_cmp_gt_u32_e64 s0, 30, v4
	v_add_nc_u32_e32 v7, 1, v4
	v_add_co_ci_u32_e32 v5, vcc_lo, 0, v4, vcc_lo
	v_lshlrev_b32_e32 v5, 2, v5
	s_waitcnt vmcnt(1)
	ds_bpermute_b32 v5, v5, v0
	s_waitcnt vmcnt(0)
	v_cmp_ne_u16_e32 vcc_lo, 0, v1
	v_cndmask_b32_e64 v1, 0, 1, s0
	v_and_or_b32 v6, v6, vcc_lo, 0x80000000
	s_delay_alu instid0(VALU_DEP_1) | instskip(NEXT) | instid1(VALU_DEP_1)
	v_ctz_i32_b32_e32 v6, v6
	v_cmp_gt_u32_e32 vcc_lo, v7, v6
	v_add_nc_u32_e32 v7, 2, v4
	s_waitcnt lgkmcnt(0)
	v_add_f32_e32 v5, v0, v5
	s_delay_alu instid0(VALU_DEP_1) | instskip(NEXT) | instid1(VALU_DEP_1)
	v_dual_cndmask_b32 v0, v5, v0 :: v_dual_lshlrev_b32 v1, 1, v1
	v_add_lshl_u32 v1, v1, v4, 2
	v_cmp_gt_u32_e32 vcc_lo, 28, v4
	ds_bpermute_b32 v1, v1, v0
	v_cndmask_b32_e64 v5, 0, 1, vcc_lo
	v_cmp_gt_u32_e32 vcc_lo, v7, v6
	v_add_nc_u32_e32 v7, 4, v4
	s_waitcnt lgkmcnt(0)
	v_add_f32_e32 v1, v0, v1
	s_delay_alu instid0(VALU_DEP_1) | instskip(SKIP_1) | instid1(VALU_DEP_2)
	v_dual_cndmask_b32 v0, v1, v0 :: v_dual_lshlrev_b32 v5, 2, v5
	v_cmp_gt_u32_e32 vcc_lo, 24, v4
	v_add_lshl_u32 v5, v5, v4, 2
	ds_bpermute_b32 v1, v5, v0
	v_cndmask_b32_e64 v5, 0, 1, vcc_lo
	v_cmp_gt_u32_e32 vcc_lo, v7, v6
	v_add_nc_u32_e32 v7, 8, v4
	s_waitcnt lgkmcnt(0)
	v_add_f32_e32 v1, v0, v1
	s_delay_alu instid0(VALU_DEP_1) | instskip(SKIP_1) | instid1(VALU_DEP_2)
	v_dual_cndmask_b32 v0, v1, v0 :: v_dual_lshlrev_b32 v5, 3, v5
	v_cmp_gt_u32_e32 vcc_lo, 16, v4
	v_add_lshl_u32 v5, v5, v4, 2
	ds_bpermute_b32 v1, v5, v0
	v_cndmask_b32_e64 v5, 0, 1, vcc_lo
	v_cmp_gt_u32_e32 vcc_lo, v7, v6
	s_waitcnt lgkmcnt(0)
	v_add_f32_e32 v1, v0, v1
	s_delay_alu instid0(VALU_DEP_1) | instskip(NEXT) | instid1(VALU_DEP_1)
	v_dual_cndmask_b32 v0, v1, v0 :: v_dual_lshlrev_b32 v5, 4, v5
	v_add_lshl_u32 v5, v5, v4, 2
	v_add_nc_u32_e32 v4, 16, v4
	ds_bpermute_b32 v1, v5, v0
	v_cmp_gt_u32_e32 vcc_lo, v4, v6
	s_waitcnt lgkmcnt(0)
	v_add_f32_e32 v1, v0, v1
	s_delay_alu instid0(VALU_DEP_1)
	v_cndmask_b32_e32 v4, v1, v0, vcc_lo
	v_add_co_u32 v0, vcc_lo, s2, v2
	v_add_co_ci_u32_e32 v1, vcc_lo, s3, v3, vcc_lo
	global_store_b32 v[0:1], v4, off
	s_nop 0
	s_sendmsg sendmsg(MSG_DEALLOC_VGPRS)
	s_endpgm
	.section	.rodata,"a",@progbits
	.p2align	6, 0x0
	.amdhsa_kernel _Z33tail_segmented_warp_reduce_kernelIfhLj128ELj32EENSt9enable_ifIXsr10test_utilsE35device_test_enabled_for_warp_size_vIXT2_EEEvE4typeEPT_PT0_S4_
		.amdhsa_group_segment_fixed_size 0
		.amdhsa_private_segment_fixed_size 0
		.amdhsa_kernarg_size 280
		.amdhsa_user_sgpr_count 15
		.amdhsa_user_sgpr_dispatch_ptr 0
		.amdhsa_user_sgpr_queue_ptr 0
		.amdhsa_user_sgpr_kernarg_segment_ptr 1
		.amdhsa_user_sgpr_dispatch_id 0
		.amdhsa_user_sgpr_private_segment_size 0
		.amdhsa_wavefront_size32 1
		.amdhsa_uses_dynamic_stack 0
		.amdhsa_enable_private_segment 0
		.amdhsa_system_sgpr_workgroup_id_x 1
		.amdhsa_system_sgpr_workgroup_id_y 0
		.amdhsa_system_sgpr_workgroup_id_z 0
		.amdhsa_system_sgpr_workgroup_info 0
		.amdhsa_system_vgpr_workitem_id 0
		.amdhsa_next_free_vgpr 8
		.amdhsa_next_free_sgpr 16
		.amdhsa_reserve_vcc 1
		.amdhsa_float_round_mode_32 0
		.amdhsa_float_round_mode_16_64 0
		.amdhsa_float_denorm_mode_32 3
		.amdhsa_float_denorm_mode_16_64 3
		.amdhsa_dx10_clamp 1
		.amdhsa_ieee_mode 1
		.amdhsa_fp16_overflow 0
		.amdhsa_workgroup_processor_mode 1
		.amdhsa_memory_ordered 1
		.amdhsa_forward_progress 0
		.amdhsa_shared_vgpr_count 0
		.amdhsa_exception_fp_ieee_invalid_op 0
		.amdhsa_exception_fp_denorm_src 0
		.amdhsa_exception_fp_ieee_div_zero 0
		.amdhsa_exception_fp_ieee_overflow 0
		.amdhsa_exception_fp_ieee_underflow 0
		.amdhsa_exception_fp_ieee_inexact 0
		.amdhsa_exception_int_div_zero 0
	.end_amdhsa_kernel
	.section	.text._Z33tail_segmented_warp_reduce_kernelIfhLj128ELj32EENSt9enable_ifIXsr10test_utilsE35device_test_enabled_for_warp_size_vIXT2_EEEvE4typeEPT_PT0_S4_,"axG",@progbits,_Z33tail_segmented_warp_reduce_kernelIfhLj128ELj32EENSt9enable_ifIXsr10test_utilsE35device_test_enabled_for_warp_size_vIXT2_EEEvE4typeEPT_PT0_S4_,comdat
.Lfunc_end235:
	.size	_Z33tail_segmented_warp_reduce_kernelIfhLj128ELj32EENSt9enable_ifIXsr10test_utilsE35device_test_enabled_for_warp_size_vIXT2_EEEvE4typeEPT_PT0_S4_, .Lfunc_end235-_Z33tail_segmented_warp_reduce_kernelIfhLj128ELj32EENSt9enable_ifIXsr10test_utilsE35device_test_enabled_for_warp_size_vIXT2_EEEvE4typeEPT_PT0_S4_
                                        ; -- End function
	.section	.AMDGPU.csdata,"",@progbits
; Kernel info:
; codeLenInByte = 452
; NumSgprs: 18
; NumVgprs: 8
; ScratchSize: 0
; MemoryBound: 0
; FloatMode: 240
; IeeeMode: 1
; LDSByteSize: 0 bytes/workgroup (compile time only)
; SGPRBlocks: 2
; VGPRBlocks: 0
; NumSGPRsForWavesPerEU: 18
; NumVGPRsForWavesPerEU: 8
; Occupancy: 16
; WaveLimiterHint : 0
; COMPUTE_PGM_RSRC2:SCRATCH_EN: 0
; COMPUTE_PGM_RSRC2:USER_SGPR: 15
; COMPUTE_PGM_RSRC2:TRAP_HANDLER: 0
; COMPUTE_PGM_RSRC2:TGID_X_EN: 1
; COMPUTE_PGM_RSRC2:TGID_Y_EN: 0
; COMPUTE_PGM_RSRC2:TGID_Z_EN: 0
; COMPUTE_PGM_RSRC2:TIDIG_COMP_CNT: 0
	.section	.text._Z33tail_segmented_warp_reduce_kernelIfhLj64ELj16EENSt9enable_ifIXsr10test_utilsE35device_test_enabled_for_warp_size_vIXT2_EEEvE4typeEPT_PT0_S4_,"axG",@progbits,_Z33tail_segmented_warp_reduce_kernelIfhLj64ELj16EENSt9enable_ifIXsr10test_utilsE35device_test_enabled_for_warp_size_vIXT2_EEEvE4typeEPT_PT0_S4_,comdat
	.protected	_Z33tail_segmented_warp_reduce_kernelIfhLj64ELj16EENSt9enable_ifIXsr10test_utilsE35device_test_enabled_for_warp_size_vIXT2_EEEvE4typeEPT_PT0_S4_ ; -- Begin function _Z33tail_segmented_warp_reduce_kernelIfhLj64ELj16EENSt9enable_ifIXsr10test_utilsE35device_test_enabled_for_warp_size_vIXT2_EEEvE4typeEPT_PT0_S4_
	.globl	_Z33tail_segmented_warp_reduce_kernelIfhLj64ELj16EENSt9enable_ifIXsr10test_utilsE35device_test_enabled_for_warp_size_vIXT2_EEEvE4typeEPT_PT0_S4_
	.p2align	8
	.type	_Z33tail_segmented_warp_reduce_kernelIfhLj64ELj16EENSt9enable_ifIXsr10test_utilsE35device_test_enabled_for_warp_size_vIXT2_EEEvE4typeEPT_PT0_S4_,@function
_Z33tail_segmented_warp_reduce_kernelIfhLj64ELj16EENSt9enable_ifIXsr10test_utilsE35device_test_enabled_for_warp_size_vIXT2_EEEvE4typeEPT_PT0_S4_: ; @_Z33tail_segmented_warp_reduce_kernelIfhLj64ELj16EENSt9enable_ifIXsr10test_utilsE35device_test_enabled_for_warp_size_vIXT2_EEEvE4typeEPT_PT0_S4_
; %bb.0:
	s_clause 0x1
	s_load_b32 s2, s[0:1], 0x24
	s_load_b128 s[4:7], s[0:1], 0x0
	s_waitcnt lgkmcnt(0)
	s_and_b32 s2, s2, 0xffff
	s_delay_alu instid0(SALU_CYCLE_1) | instskip(SKIP_2) | instid1(VALU_DEP_1)
	v_mad_u64_u32 v[1:2], null, s15, s2, v[0:1]
	v_mov_b32_e32 v2, 0
	s_load_b64 s[2:3], s[0:1], 0x10
	v_lshlrev_b64 v[2:3], 2, v[1:2]
	s_delay_alu instid0(VALU_DEP_1) | instskip(NEXT) | instid1(VALU_DEP_2)
	v_add_co_u32 v4, vcc_lo, s4, v2
	v_add_co_ci_u32_e32 v5, vcc_lo, s5, v3, vcc_lo
	global_load_u8 v0, v1, s[6:7]
	global_load_b32 v1, v[4:5], off
	v_mbcnt_lo_u32_b32 v4, -1, 0
	s_delay_alu instid0(VALU_DEP_1) | instskip(SKIP_1) | instid1(VALU_DEP_2)
	v_and_b32_e32 v5, 15, v4
	v_lshlrev_b32_e64 v7, v4, -1
	v_cmp_ne_u32_e32 vcc_lo, 15, v5
	v_cmp_gt_u32_e64 s0, 12, v5
	v_add_co_ci_u32_e32 v6, vcc_lo, 0, v4, vcc_lo
	s_delay_alu instid0(VALU_DEP_2) | instskip(NEXT) | instid1(VALU_DEP_2)
	v_cndmask_b32_e64 v8, 0, 1, s0
	v_lshlrev_b32_e32 v6, 2, v6
	s_delay_alu instid0(VALU_DEP_2) | instskip(NEXT) | instid1(VALU_DEP_1)
	v_lshlrev_b32_e32 v8, 2, v8
	v_add_lshl_u32 v8, v8, v4, 2
	s_waitcnt vmcnt(1)
	v_cmp_ne_u16_e32 vcc_lo, 0, v0
	s_waitcnt vmcnt(0)
	ds_bpermute_b32 v0, v6, v1
	v_and_b32_e32 v6, 16, v4
	v_and_b32_e32 v7, vcc_lo, v7
	v_cmp_gt_u32_e32 vcc_lo, 14, v5
	s_waitcnt lgkmcnt(0)
	v_add_f32_e32 v0, v1, v0
	s_delay_alu instid0(VALU_DEP_3) | instskip(SKIP_1) | instid1(VALU_DEP_2)
	v_lshrrev_b32_e32 v6, v6, v7
	v_cndmask_b32_e64 v7, 0, 1, vcc_lo
	v_or_b32_e32 v6, 0x8000, v6
	s_delay_alu instid0(VALU_DEP_1) | instskip(NEXT) | instid1(VALU_DEP_1)
	v_ctz_i32_b32_e32 v6, v6
	v_cmp_lt_u32_e32 vcc_lo, v5, v6
	s_delay_alu instid0(VALU_DEP_4) | instskip(SKIP_1) | instid1(VALU_DEP_2)
	v_lshlrev_b32_e32 v7, 1, v7
	v_dual_cndmask_b32 v0, v1, v0 :: v_dual_add_nc_u32 v9, 2, v5
	v_add_lshl_u32 v7, v7, v4, 2
	s_delay_alu instid0(VALU_DEP_2) | instskip(SKIP_4) | instid1(VALU_DEP_1)
	v_cmp_gt_u32_e64 s0, v9, v6
	v_add_nc_u32_e32 v9, 4, v5
	ds_bpermute_b32 v7, v7, v0
	s_waitcnt lgkmcnt(0)
	v_add_f32_e32 v7, v0, v7
	v_cndmask_b32_e64 v0, v7, v0, s0
	v_cmp_gt_u32_e64 s0, 8, v5
	ds_bpermute_b32 v7, v8, v0
	v_cndmask_b32_e64 v8, 0, 1, s0
	v_cmp_gt_u32_e64 s0, v9, v6
	s_delay_alu instid0(VALU_DEP_2) | instskip(NEXT) | instid1(VALU_DEP_1)
	v_lshlrev_b32_e32 v8, 3, v8
	v_add_lshl_u32 v4, v8, v4, 2
	s_waitcnt lgkmcnt(0)
	v_add_f32_e32 v7, v0, v7
	s_delay_alu instid0(VALU_DEP_1)
	v_cndmask_b32_e64 v8, v7, v0, s0
	v_cndmask_b32_e32 v0, v1, v0, vcc_lo
	ds_bpermute_b32 v4, v4, v8
	v_cndmask_b32_e64 v0, v7, v0, s0
	s_waitcnt lgkmcnt(0)
	v_dual_add_f32 v4, v8, v4 :: v_dual_add_nc_u32 v1, 8, v5
	s_delay_alu instid0(VALU_DEP_1) | instskip(NEXT) | instid1(VALU_DEP_2)
	v_cmp_gt_u32_e32 vcc_lo, v1, v6
	v_cndmask_b32_e32 v4, v4, v0, vcc_lo
	v_add_co_u32 v0, vcc_lo, s2, v2
	v_add_co_ci_u32_e32 v1, vcc_lo, s3, v3, vcc_lo
	global_store_b32 v[0:1], v4, off
	s_nop 0
	s_sendmsg sendmsg(MSG_DEALLOC_VGPRS)
	s_endpgm
	.section	.rodata,"a",@progbits
	.p2align	6, 0x0
	.amdhsa_kernel _Z33tail_segmented_warp_reduce_kernelIfhLj64ELj16EENSt9enable_ifIXsr10test_utilsE35device_test_enabled_for_warp_size_vIXT2_EEEvE4typeEPT_PT0_S4_
		.amdhsa_group_segment_fixed_size 0
		.amdhsa_private_segment_fixed_size 0
		.amdhsa_kernarg_size 280
		.amdhsa_user_sgpr_count 15
		.amdhsa_user_sgpr_dispatch_ptr 0
		.amdhsa_user_sgpr_queue_ptr 0
		.amdhsa_user_sgpr_kernarg_segment_ptr 1
		.amdhsa_user_sgpr_dispatch_id 0
		.amdhsa_user_sgpr_private_segment_size 0
		.amdhsa_wavefront_size32 1
		.amdhsa_uses_dynamic_stack 0
		.amdhsa_enable_private_segment 0
		.amdhsa_system_sgpr_workgroup_id_x 1
		.amdhsa_system_sgpr_workgroup_id_y 0
		.amdhsa_system_sgpr_workgroup_id_z 0
		.amdhsa_system_sgpr_workgroup_info 0
		.amdhsa_system_vgpr_workitem_id 0
		.amdhsa_next_free_vgpr 10
		.amdhsa_next_free_sgpr 16
		.amdhsa_reserve_vcc 1
		.amdhsa_float_round_mode_32 0
		.amdhsa_float_round_mode_16_64 0
		.amdhsa_float_denorm_mode_32 3
		.amdhsa_float_denorm_mode_16_64 3
		.amdhsa_dx10_clamp 1
		.amdhsa_ieee_mode 1
		.amdhsa_fp16_overflow 0
		.amdhsa_workgroup_processor_mode 1
		.amdhsa_memory_ordered 1
		.amdhsa_forward_progress 0
		.amdhsa_shared_vgpr_count 0
		.amdhsa_exception_fp_ieee_invalid_op 0
		.amdhsa_exception_fp_denorm_src 0
		.amdhsa_exception_fp_ieee_div_zero 0
		.amdhsa_exception_fp_ieee_overflow 0
		.amdhsa_exception_fp_ieee_underflow 0
		.amdhsa_exception_fp_ieee_inexact 0
		.amdhsa_exception_int_div_zero 0
	.end_amdhsa_kernel
	.section	.text._Z33tail_segmented_warp_reduce_kernelIfhLj64ELj16EENSt9enable_ifIXsr10test_utilsE35device_test_enabled_for_warp_size_vIXT2_EEEvE4typeEPT_PT0_S4_,"axG",@progbits,_Z33tail_segmented_warp_reduce_kernelIfhLj64ELj16EENSt9enable_ifIXsr10test_utilsE35device_test_enabled_for_warp_size_vIXT2_EEEvE4typeEPT_PT0_S4_,comdat
.Lfunc_end236:
	.size	_Z33tail_segmented_warp_reduce_kernelIfhLj64ELj16EENSt9enable_ifIXsr10test_utilsE35device_test_enabled_for_warp_size_vIXT2_EEEvE4typeEPT_PT0_S4_, .Lfunc_end236-_Z33tail_segmented_warp_reduce_kernelIfhLj64ELj16EENSt9enable_ifIXsr10test_utilsE35device_test_enabled_for_warp_size_vIXT2_EEEvE4typeEPT_PT0_S4_
                                        ; -- End function
	.section	.AMDGPU.csdata,"",@progbits
; Kernel info:
; codeLenInByte = 452
; NumSgprs: 18
; NumVgprs: 10
; ScratchSize: 0
; MemoryBound: 0
; FloatMode: 240
; IeeeMode: 1
; LDSByteSize: 0 bytes/workgroup (compile time only)
; SGPRBlocks: 2
; VGPRBlocks: 1
; NumSGPRsForWavesPerEU: 18
; NumVGPRsForWavesPerEU: 10
; Occupancy: 16
; WaveLimiterHint : 0
; COMPUTE_PGM_RSRC2:SCRATCH_EN: 0
; COMPUTE_PGM_RSRC2:USER_SGPR: 15
; COMPUTE_PGM_RSRC2:TRAP_HANDLER: 0
; COMPUTE_PGM_RSRC2:TGID_X_EN: 1
; COMPUTE_PGM_RSRC2:TGID_Y_EN: 0
; COMPUTE_PGM_RSRC2:TGID_Z_EN: 0
; COMPUTE_PGM_RSRC2:TIDIG_COMP_CNT: 0
	.section	.text._Z33tail_segmented_warp_reduce_kernelIfhLj32ELj8EENSt9enable_ifIXsr10test_utilsE35device_test_enabled_for_warp_size_vIXT2_EEEvE4typeEPT_PT0_S4_,"axG",@progbits,_Z33tail_segmented_warp_reduce_kernelIfhLj32ELj8EENSt9enable_ifIXsr10test_utilsE35device_test_enabled_for_warp_size_vIXT2_EEEvE4typeEPT_PT0_S4_,comdat
	.protected	_Z33tail_segmented_warp_reduce_kernelIfhLj32ELj8EENSt9enable_ifIXsr10test_utilsE35device_test_enabled_for_warp_size_vIXT2_EEEvE4typeEPT_PT0_S4_ ; -- Begin function _Z33tail_segmented_warp_reduce_kernelIfhLj32ELj8EENSt9enable_ifIXsr10test_utilsE35device_test_enabled_for_warp_size_vIXT2_EEEvE4typeEPT_PT0_S4_
	.globl	_Z33tail_segmented_warp_reduce_kernelIfhLj32ELj8EENSt9enable_ifIXsr10test_utilsE35device_test_enabled_for_warp_size_vIXT2_EEEvE4typeEPT_PT0_S4_
	.p2align	8
	.type	_Z33tail_segmented_warp_reduce_kernelIfhLj32ELj8EENSt9enable_ifIXsr10test_utilsE35device_test_enabled_for_warp_size_vIXT2_EEEvE4typeEPT_PT0_S4_,@function
_Z33tail_segmented_warp_reduce_kernelIfhLj32ELj8EENSt9enable_ifIXsr10test_utilsE35device_test_enabled_for_warp_size_vIXT2_EEEvE4typeEPT_PT0_S4_: ; @_Z33tail_segmented_warp_reduce_kernelIfhLj32ELj8EENSt9enable_ifIXsr10test_utilsE35device_test_enabled_for_warp_size_vIXT2_EEEvE4typeEPT_PT0_S4_
; %bb.0:
	s_clause 0x1
	s_load_b32 s2, s[0:1], 0x24
	s_load_b128 s[4:7], s[0:1], 0x0
	s_waitcnt lgkmcnt(0)
	s_and_b32 s2, s2, 0xffff
	s_delay_alu instid0(SALU_CYCLE_1) | instskip(SKIP_2) | instid1(VALU_DEP_1)
	v_mad_u64_u32 v[1:2], null, s15, s2, v[0:1]
	v_mov_b32_e32 v2, 0
	s_load_b64 s[2:3], s[0:1], 0x10
	v_lshlrev_b64 v[2:3], 2, v[1:2]
	s_delay_alu instid0(VALU_DEP_1) | instskip(NEXT) | instid1(VALU_DEP_2)
	v_add_co_u32 v4, vcc_lo, s4, v2
	v_add_co_ci_u32_e32 v5, vcc_lo, s5, v3, vcc_lo
	global_load_u8 v0, v1, s[6:7]
	global_load_b32 v1, v[4:5], off
	v_mbcnt_lo_u32_b32 v4, -1, 0
	s_delay_alu instid0(VALU_DEP_1) | instskip(SKIP_1) | instid1(VALU_DEP_2)
	v_and_b32_e32 v5, 7, v4
	v_lshlrev_b32_e64 v7, v4, -1
	v_cmp_ne_u32_e32 vcc_lo, 7, v5
	v_cmp_gt_u32_e64 s0, 4, v5
	v_add_nc_u32_e32 v9, 2, v5
	v_add_co_ci_u32_e32 v6, vcc_lo, 0, v4, vcc_lo
	s_delay_alu instid0(VALU_DEP_3) | instskip(NEXT) | instid1(VALU_DEP_2)
	v_cndmask_b32_e64 v8, 0, 1, s0
	v_lshlrev_b32_e32 v6, 2, v6
	s_delay_alu instid0(VALU_DEP_2)
	v_lshlrev_b32_e32 v8, 2, v8
	s_waitcnt vmcnt(1)
	v_cmp_ne_u16_e32 vcc_lo, 0, v0
	s_waitcnt vmcnt(0)
	ds_bpermute_b32 v0, v6, v1
	v_and_b32_e32 v6, 24, v4
	v_and_b32_e32 v7, vcc_lo, v7
	v_cmp_gt_u32_e32 vcc_lo, 6, v5
	s_waitcnt lgkmcnt(0)
	v_add_f32_e32 v0, v1, v0
	s_delay_alu instid0(VALU_DEP_3) | instskip(SKIP_1) | instid1(VALU_DEP_2)
	v_lshrrev_b32_e32 v6, v6, v7
	v_cndmask_b32_e64 v7, 0, 1, vcc_lo
	v_or_b32_e32 v6, 0x80, v6
	s_delay_alu instid0(VALU_DEP_1) | instskip(NEXT) | instid1(VALU_DEP_1)
	v_ctz_i32_b32_e32 v6, v6
	v_cmp_lt_u32_e32 vcc_lo, v5, v6
	s_delay_alu instid0(VALU_DEP_4) | instskip(SKIP_2) | instid1(VALU_DEP_3)
	v_lshlrev_b32_e32 v7, 1, v7
	v_cmp_gt_u32_e64 s0, v9, v6
	v_dual_cndmask_b32 v0, v1, v0 :: v_dual_add_nc_u32 v5, 4, v5
	v_add_lshl_u32 v7, v7, v4, 2
	v_add_lshl_u32 v4, v8, v4, 2
	ds_bpermute_b32 v7, v7, v0
	s_waitcnt lgkmcnt(0)
	v_add_f32_e32 v7, v0, v7
	s_delay_alu instid0(VALU_DEP_1)
	v_cndmask_b32_e64 v0, v7, v0, s0
	ds_bpermute_b32 v4, v4, v0
	v_cndmask_b32_e32 v1, v1, v0, vcc_lo
	v_cmp_gt_u32_e32 vcc_lo, v5, v6
	s_waitcnt lgkmcnt(0)
	v_add_f32_e32 v0, v0, v4
	s_delay_alu instid0(VALU_DEP_1)
	v_cndmask_b32_e32 v4, v0, v1, vcc_lo
	v_add_co_u32 v0, vcc_lo, s2, v2
	v_add_co_ci_u32_e32 v1, vcc_lo, s3, v3, vcc_lo
	global_store_b32 v[0:1], v4, off
	s_nop 0
	s_sendmsg sendmsg(MSG_DEALLOC_VGPRS)
	s_endpgm
	.section	.rodata,"a",@progbits
	.p2align	6, 0x0
	.amdhsa_kernel _Z33tail_segmented_warp_reduce_kernelIfhLj32ELj8EENSt9enable_ifIXsr10test_utilsE35device_test_enabled_for_warp_size_vIXT2_EEEvE4typeEPT_PT0_S4_
		.amdhsa_group_segment_fixed_size 0
		.amdhsa_private_segment_fixed_size 0
		.amdhsa_kernarg_size 280
		.amdhsa_user_sgpr_count 15
		.amdhsa_user_sgpr_dispatch_ptr 0
		.amdhsa_user_sgpr_queue_ptr 0
		.amdhsa_user_sgpr_kernarg_segment_ptr 1
		.amdhsa_user_sgpr_dispatch_id 0
		.amdhsa_user_sgpr_private_segment_size 0
		.amdhsa_wavefront_size32 1
		.amdhsa_uses_dynamic_stack 0
		.amdhsa_enable_private_segment 0
		.amdhsa_system_sgpr_workgroup_id_x 1
		.amdhsa_system_sgpr_workgroup_id_y 0
		.amdhsa_system_sgpr_workgroup_id_z 0
		.amdhsa_system_sgpr_workgroup_info 0
		.amdhsa_system_vgpr_workitem_id 0
		.amdhsa_next_free_vgpr 10
		.amdhsa_next_free_sgpr 16
		.amdhsa_reserve_vcc 1
		.amdhsa_float_round_mode_32 0
		.amdhsa_float_round_mode_16_64 0
		.amdhsa_float_denorm_mode_32 3
		.amdhsa_float_denorm_mode_16_64 3
		.amdhsa_dx10_clamp 1
		.amdhsa_ieee_mode 1
		.amdhsa_fp16_overflow 0
		.amdhsa_workgroup_processor_mode 1
		.amdhsa_memory_ordered 1
		.amdhsa_forward_progress 0
		.amdhsa_shared_vgpr_count 0
		.amdhsa_exception_fp_ieee_invalid_op 0
		.amdhsa_exception_fp_denorm_src 0
		.amdhsa_exception_fp_ieee_div_zero 0
		.amdhsa_exception_fp_ieee_overflow 0
		.amdhsa_exception_fp_ieee_underflow 0
		.amdhsa_exception_fp_ieee_inexact 0
		.amdhsa_exception_int_div_zero 0
	.end_amdhsa_kernel
	.section	.text._Z33tail_segmented_warp_reduce_kernelIfhLj32ELj8EENSt9enable_ifIXsr10test_utilsE35device_test_enabled_for_warp_size_vIXT2_EEEvE4typeEPT_PT0_S4_,"axG",@progbits,_Z33tail_segmented_warp_reduce_kernelIfhLj32ELj8EENSt9enable_ifIXsr10test_utilsE35device_test_enabled_for_warp_size_vIXT2_EEEvE4typeEPT_PT0_S4_,comdat
.Lfunc_end237:
	.size	_Z33tail_segmented_warp_reduce_kernelIfhLj32ELj8EENSt9enable_ifIXsr10test_utilsE35device_test_enabled_for_warp_size_vIXT2_EEEvE4typeEPT_PT0_S4_, .Lfunc_end237-_Z33tail_segmented_warp_reduce_kernelIfhLj32ELj8EENSt9enable_ifIXsr10test_utilsE35device_test_enabled_for_warp_size_vIXT2_EEEvE4typeEPT_PT0_S4_
                                        ; -- End function
	.section	.AMDGPU.csdata,"",@progbits
; Kernel info:
; codeLenInByte = 372
; NumSgprs: 18
; NumVgprs: 10
; ScratchSize: 0
; MemoryBound: 0
; FloatMode: 240
; IeeeMode: 1
; LDSByteSize: 0 bytes/workgroup (compile time only)
; SGPRBlocks: 2
; VGPRBlocks: 1
; NumSGPRsForWavesPerEU: 18
; NumVGPRsForWavesPerEU: 10
; Occupancy: 16
; WaveLimiterHint : 0
; COMPUTE_PGM_RSRC2:SCRATCH_EN: 0
; COMPUTE_PGM_RSRC2:USER_SGPR: 15
; COMPUTE_PGM_RSRC2:TRAP_HANDLER: 0
; COMPUTE_PGM_RSRC2:TGID_X_EN: 1
; COMPUTE_PGM_RSRC2:TGID_Y_EN: 0
; COMPUTE_PGM_RSRC2:TGID_Z_EN: 0
; COMPUTE_PGM_RSRC2:TIDIG_COMP_CNT: 0
	.section	.text._Z33tail_segmented_warp_reduce_kernelIfhLj64ELj8EENSt9enable_ifIXsr10test_utilsE35device_test_enabled_for_warp_size_vIXT2_EEEvE4typeEPT_PT0_S4_,"axG",@progbits,_Z33tail_segmented_warp_reduce_kernelIfhLj64ELj8EENSt9enable_ifIXsr10test_utilsE35device_test_enabled_for_warp_size_vIXT2_EEEvE4typeEPT_PT0_S4_,comdat
	.protected	_Z33tail_segmented_warp_reduce_kernelIfhLj64ELj8EENSt9enable_ifIXsr10test_utilsE35device_test_enabled_for_warp_size_vIXT2_EEEvE4typeEPT_PT0_S4_ ; -- Begin function _Z33tail_segmented_warp_reduce_kernelIfhLj64ELj8EENSt9enable_ifIXsr10test_utilsE35device_test_enabled_for_warp_size_vIXT2_EEEvE4typeEPT_PT0_S4_
	.globl	_Z33tail_segmented_warp_reduce_kernelIfhLj64ELj8EENSt9enable_ifIXsr10test_utilsE35device_test_enabled_for_warp_size_vIXT2_EEEvE4typeEPT_PT0_S4_
	.p2align	8
	.type	_Z33tail_segmented_warp_reduce_kernelIfhLj64ELj8EENSt9enable_ifIXsr10test_utilsE35device_test_enabled_for_warp_size_vIXT2_EEEvE4typeEPT_PT0_S4_,@function
_Z33tail_segmented_warp_reduce_kernelIfhLj64ELj8EENSt9enable_ifIXsr10test_utilsE35device_test_enabled_for_warp_size_vIXT2_EEEvE4typeEPT_PT0_S4_: ; @_Z33tail_segmented_warp_reduce_kernelIfhLj64ELj8EENSt9enable_ifIXsr10test_utilsE35device_test_enabled_for_warp_size_vIXT2_EEEvE4typeEPT_PT0_S4_
; %bb.0:
	s_clause 0x1
	s_load_b32 s2, s[0:1], 0x24
	s_load_b128 s[4:7], s[0:1], 0x0
	s_waitcnt lgkmcnt(0)
	s_and_b32 s2, s2, 0xffff
	s_delay_alu instid0(SALU_CYCLE_1) | instskip(SKIP_2) | instid1(VALU_DEP_1)
	v_mad_u64_u32 v[1:2], null, s15, s2, v[0:1]
	v_mov_b32_e32 v2, 0
	s_load_b64 s[2:3], s[0:1], 0x10
	v_lshlrev_b64 v[2:3], 2, v[1:2]
	s_delay_alu instid0(VALU_DEP_1) | instskip(NEXT) | instid1(VALU_DEP_2)
	v_add_co_u32 v4, vcc_lo, s4, v2
	v_add_co_ci_u32_e32 v5, vcc_lo, s5, v3, vcc_lo
	global_load_u8 v0, v1, s[6:7]
	global_load_b32 v1, v[4:5], off
	v_mbcnt_lo_u32_b32 v4, -1, 0
	s_delay_alu instid0(VALU_DEP_1) | instskip(SKIP_1) | instid1(VALU_DEP_2)
	v_and_b32_e32 v5, 7, v4
	v_lshlrev_b32_e64 v7, v4, -1
	v_cmp_ne_u32_e32 vcc_lo, 7, v5
	v_cmp_gt_u32_e64 s0, 4, v5
	v_add_nc_u32_e32 v9, 2, v5
	v_add_co_ci_u32_e32 v6, vcc_lo, 0, v4, vcc_lo
	s_delay_alu instid0(VALU_DEP_3) | instskip(NEXT) | instid1(VALU_DEP_2)
	v_cndmask_b32_e64 v8, 0, 1, s0
	v_lshlrev_b32_e32 v6, 2, v6
	s_delay_alu instid0(VALU_DEP_2)
	v_lshlrev_b32_e32 v8, 2, v8
	s_waitcnt vmcnt(1)
	v_cmp_ne_u16_e32 vcc_lo, 0, v0
	s_waitcnt vmcnt(0)
	ds_bpermute_b32 v0, v6, v1
	v_and_b32_e32 v6, 24, v4
	v_and_b32_e32 v7, vcc_lo, v7
	v_cmp_gt_u32_e32 vcc_lo, 6, v5
	s_waitcnt lgkmcnt(0)
	v_add_f32_e32 v0, v1, v0
	s_delay_alu instid0(VALU_DEP_3) | instskip(SKIP_1) | instid1(VALU_DEP_2)
	v_lshrrev_b32_e32 v6, v6, v7
	v_cndmask_b32_e64 v7, 0, 1, vcc_lo
	v_or_b32_e32 v6, 0x80, v6
	s_delay_alu instid0(VALU_DEP_1) | instskip(NEXT) | instid1(VALU_DEP_1)
	v_ctz_i32_b32_e32 v6, v6
	v_cmp_lt_u32_e32 vcc_lo, v5, v6
	s_delay_alu instid0(VALU_DEP_4) | instskip(SKIP_2) | instid1(VALU_DEP_3)
	v_lshlrev_b32_e32 v7, 1, v7
	v_cmp_gt_u32_e64 s0, v9, v6
	v_dual_cndmask_b32 v0, v1, v0 :: v_dual_add_nc_u32 v5, 4, v5
	v_add_lshl_u32 v7, v7, v4, 2
	v_add_lshl_u32 v4, v8, v4, 2
	ds_bpermute_b32 v7, v7, v0
	s_waitcnt lgkmcnt(0)
	v_add_f32_e32 v7, v0, v7
	s_delay_alu instid0(VALU_DEP_1)
	v_cndmask_b32_e64 v0, v7, v0, s0
	ds_bpermute_b32 v4, v4, v0
	v_cndmask_b32_e32 v1, v1, v0, vcc_lo
	v_cmp_gt_u32_e32 vcc_lo, v5, v6
	s_waitcnt lgkmcnt(0)
	v_add_f32_e32 v0, v0, v4
	s_delay_alu instid0(VALU_DEP_1)
	v_cndmask_b32_e32 v4, v0, v1, vcc_lo
	v_add_co_u32 v0, vcc_lo, s2, v2
	v_add_co_ci_u32_e32 v1, vcc_lo, s3, v3, vcc_lo
	global_store_b32 v[0:1], v4, off
	s_nop 0
	s_sendmsg sendmsg(MSG_DEALLOC_VGPRS)
	s_endpgm
	.section	.rodata,"a",@progbits
	.p2align	6, 0x0
	.amdhsa_kernel _Z33tail_segmented_warp_reduce_kernelIfhLj64ELj8EENSt9enable_ifIXsr10test_utilsE35device_test_enabled_for_warp_size_vIXT2_EEEvE4typeEPT_PT0_S4_
		.amdhsa_group_segment_fixed_size 0
		.amdhsa_private_segment_fixed_size 0
		.amdhsa_kernarg_size 280
		.amdhsa_user_sgpr_count 15
		.amdhsa_user_sgpr_dispatch_ptr 0
		.amdhsa_user_sgpr_queue_ptr 0
		.amdhsa_user_sgpr_kernarg_segment_ptr 1
		.amdhsa_user_sgpr_dispatch_id 0
		.amdhsa_user_sgpr_private_segment_size 0
		.amdhsa_wavefront_size32 1
		.amdhsa_uses_dynamic_stack 0
		.amdhsa_enable_private_segment 0
		.amdhsa_system_sgpr_workgroup_id_x 1
		.amdhsa_system_sgpr_workgroup_id_y 0
		.amdhsa_system_sgpr_workgroup_id_z 0
		.amdhsa_system_sgpr_workgroup_info 0
		.amdhsa_system_vgpr_workitem_id 0
		.amdhsa_next_free_vgpr 10
		.amdhsa_next_free_sgpr 16
		.amdhsa_reserve_vcc 1
		.amdhsa_float_round_mode_32 0
		.amdhsa_float_round_mode_16_64 0
		.amdhsa_float_denorm_mode_32 3
		.amdhsa_float_denorm_mode_16_64 3
		.amdhsa_dx10_clamp 1
		.amdhsa_ieee_mode 1
		.amdhsa_fp16_overflow 0
		.amdhsa_workgroup_processor_mode 1
		.amdhsa_memory_ordered 1
		.amdhsa_forward_progress 0
		.amdhsa_shared_vgpr_count 0
		.amdhsa_exception_fp_ieee_invalid_op 0
		.amdhsa_exception_fp_denorm_src 0
		.amdhsa_exception_fp_ieee_div_zero 0
		.amdhsa_exception_fp_ieee_overflow 0
		.amdhsa_exception_fp_ieee_underflow 0
		.amdhsa_exception_fp_ieee_inexact 0
		.amdhsa_exception_int_div_zero 0
	.end_amdhsa_kernel
	.section	.text._Z33tail_segmented_warp_reduce_kernelIfhLj64ELj8EENSt9enable_ifIXsr10test_utilsE35device_test_enabled_for_warp_size_vIXT2_EEEvE4typeEPT_PT0_S4_,"axG",@progbits,_Z33tail_segmented_warp_reduce_kernelIfhLj64ELj8EENSt9enable_ifIXsr10test_utilsE35device_test_enabled_for_warp_size_vIXT2_EEEvE4typeEPT_PT0_S4_,comdat
.Lfunc_end238:
	.size	_Z33tail_segmented_warp_reduce_kernelIfhLj64ELj8EENSt9enable_ifIXsr10test_utilsE35device_test_enabled_for_warp_size_vIXT2_EEEvE4typeEPT_PT0_S4_, .Lfunc_end238-_Z33tail_segmented_warp_reduce_kernelIfhLj64ELj8EENSt9enable_ifIXsr10test_utilsE35device_test_enabled_for_warp_size_vIXT2_EEEvE4typeEPT_PT0_S4_
                                        ; -- End function
	.section	.AMDGPU.csdata,"",@progbits
; Kernel info:
; codeLenInByte = 372
; NumSgprs: 18
; NumVgprs: 10
; ScratchSize: 0
; MemoryBound: 0
; FloatMode: 240
; IeeeMode: 1
; LDSByteSize: 0 bytes/workgroup (compile time only)
; SGPRBlocks: 2
; VGPRBlocks: 1
; NumSGPRsForWavesPerEU: 18
; NumVGPRsForWavesPerEU: 10
; Occupancy: 16
; WaveLimiterHint : 0
; COMPUTE_PGM_RSRC2:SCRATCH_EN: 0
; COMPUTE_PGM_RSRC2:USER_SGPR: 15
; COMPUTE_PGM_RSRC2:TRAP_HANDLER: 0
; COMPUTE_PGM_RSRC2:TGID_X_EN: 1
; COMPUTE_PGM_RSRC2:TGID_Y_EN: 0
; COMPUTE_PGM_RSRC2:TGID_Z_EN: 0
; COMPUTE_PGM_RSRC2:TIDIG_COMP_CNT: 0
	.section	.text._Z33tail_segmented_warp_reduce_kernelIfhLj32ELj4EENSt9enable_ifIXsr10test_utilsE35device_test_enabled_for_warp_size_vIXT2_EEEvE4typeEPT_PT0_S4_,"axG",@progbits,_Z33tail_segmented_warp_reduce_kernelIfhLj32ELj4EENSt9enable_ifIXsr10test_utilsE35device_test_enabled_for_warp_size_vIXT2_EEEvE4typeEPT_PT0_S4_,comdat
	.protected	_Z33tail_segmented_warp_reduce_kernelIfhLj32ELj4EENSt9enable_ifIXsr10test_utilsE35device_test_enabled_for_warp_size_vIXT2_EEEvE4typeEPT_PT0_S4_ ; -- Begin function _Z33tail_segmented_warp_reduce_kernelIfhLj32ELj4EENSt9enable_ifIXsr10test_utilsE35device_test_enabled_for_warp_size_vIXT2_EEEvE4typeEPT_PT0_S4_
	.globl	_Z33tail_segmented_warp_reduce_kernelIfhLj32ELj4EENSt9enable_ifIXsr10test_utilsE35device_test_enabled_for_warp_size_vIXT2_EEEvE4typeEPT_PT0_S4_
	.p2align	8
	.type	_Z33tail_segmented_warp_reduce_kernelIfhLj32ELj4EENSt9enable_ifIXsr10test_utilsE35device_test_enabled_for_warp_size_vIXT2_EEEvE4typeEPT_PT0_S4_,@function
_Z33tail_segmented_warp_reduce_kernelIfhLj32ELj4EENSt9enable_ifIXsr10test_utilsE35device_test_enabled_for_warp_size_vIXT2_EEEvE4typeEPT_PT0_S4_: ; @_Z33tail_segmented_warp_reduce_kernelIfhLj32ELj4EENSt9enable_ifIXsr10test_utilsE35device_test_enabled_for_warp_size_vIXT2_EEEvE4typeEPT_PT0_S4_
; %bb.0:
	s_clause 0x1
	s_load_b32 s2, s[0:1], 0x24
	s_load_b128 s[4:7], s[0:1], 0x0
	s_waitcnt lgkmcnt(0)
	s_and_b32 s2, s2, 0xffff
	s_delay_alu instid0(SALU_CYCLE_1) | instskip(SKIP_2) | instid1(VALU_DEP_1)
	v_mad_u64_u32 v[1:2], null, s15, s2, v[0:1]
	v_mov_b32_e32 v2, 0
	s_load_b64 s[2:3], s[0:1], 0x10
	v_lshlrev_b64 v[2:3], 2, v[1:2]
	s_delay_alu instid0(VALU_DEP_1) | instskip(NEXT) | instid1(VALU_DEP_2)
	v_add_co_u32 v4, vcc_lo, s4, v2
	v_add_co_ci_u32_e32 v5, vcc_lo, s5, v3, vcc_lo
	global_load_u8 v0, v1, s[6:7]
	global_load_b32 v1, v[4:5], off
	v_mbcnt_lo_u32_b32 v4, -1, 0
	s_delay_alu instid0(VALU_DEP_1) | instskip(SKIP_1) | instid1(VALU_DEP_2)
	v_and_b32_e32 v5, 3, v4
	v_lshlrev_b32_e64 v7, v4, -1
	v_cmp_ne_u32_e32 vcc_lo, 3, v5
	v_add_co_ci_u32_e32 v6, vcc_lo, 0, v4, vcc_lo
	s_delay_alu instid0(VALU_DEP_1)
	v_lshlrev_b32_e32 v6, 2, v6
	s_waitcnt vmcnt(1)
	v_cmp_ne_u16_e32 vcc_lo, 0, v0
	s_waitcnt vmcnt(0)
	ds_bpermute_b32 v0, v6, v1
	v_and_b32_e32 v6, 28, v4
	v_and_b32_e32 v7, vcc_lo, v7
	v_cmp_gt_u32_e32 vcc_lo, 2, v5
	s_waitcnt lgkmcnt(0)
	v_add_f32_e32 v0, v1, v0
	s_delay_alu instid0(VALU_DEP_3) | instskip(SKIP_1) | instid1(VALU_DEP_2)
	v_lshrrev_b32_e32 v6, v6, v7
	v_cndmask_b32_e64 v7, 0, 1, vcc_lo
	v_or_b32_e32 v6, 8, v6
	s_delay_alu instid0(VALU_DEP_1) | instskip(NEXT) | instid1(VALU_DEP_1)
	v_ctz_i32_b32_e32 v6, v6
	v_cmp_lt_u32_e32 vcc_lo, v5, v6
	s_delay_alu instid0(VALU_DEP_4) | instskip(NEXT) | instid1(VALU_DEP_1)
	v_dual_cndmask_b32 v0, v1, v0 :: v_dual_lshlrev_b32 v7, 1, v7
	v_add_lshl_u32 v4, v7, v4, 2
	ds_bpermute_b32 v4, v4, v0
	s_waitcnt lgkmcnt(0)
	v_dual_add_f32 v4, v0, v4 :: v_dual_add_nc_u32 v5, 2, v5
	s_delay_alu instid0(VALU_DEP_1) | instskip(NEXT) | instid1(VALU_DEP_1)
	v_cmp_gt_u32_e64 s0, v5, v6
	v_cndmask_b32_e64 v0, v4, v0, s0
	s_delay_alu instid0(VALU_DEP_1)
	v_cndmask_b32_e32 v4, v1, v0, vcc_lo
	v_add_co_u32 v0, vcc_lo, s2, v2
	v_add_co_ci_u32_e32 v1, vcc_lo, s3, v3, vcc_lo
	global_store_b32 v[0:1], v4, off
	s_nop 0
	s_sendmsg sendmsg(MSG_DEALLOC_VGPRS)
	s_endpgm
	.section	.rodata,"a",@progbits
	.p2align	6, 0x0
	.amdhsa_kernel _Z33tail_segmented_warp_reduce_kernelIfhLj32ELj4EENSt9enable_ifIXsr10test_utilsE35device_test_enabled_for_warp_size_vIXT2_EEEvE4typeEPT_PT0_S4_
		.amdhsa_group_segment_fixed_size 0
		.amdhsa_private_segment_fixed_size 0
		.amdhsa_kernarg_size 280
		.amdhsa_user_sgpr_count 15
		.amdhsa_user_sgpr_dispatch_ptr 0
		.amdhsa_user_sgpr_queue_ptr 0
		.amdhsa_user_sgpr_kernarg_segment_ptr 1
		.amdhsa_user_sgpr_dispatch_id 0
		.amdhsa_user_sgpr_private_segment_size 0
		.amdhsa_wavefront_size32 1
		.amdhsa_uses_dynamic_stack 0
		.amdhsa_enable_private_segment 0
		.amdhsa_system_sgpr_workgroup_id_x 1
		.amdhsa_system_sgpr_workgroup_id_y 0
		.amdhsa_system_sgpr_workgroup_id_z 0
		.amdhsa_system_sgpr_workgroup_info 0
		.amdhsa_system_vgpr_workitem_id 0
		.amdhsa_next_free_vgpr 8
		.amdhsa_next_free_sgpr 16
		.amdhsa_reserve_vcc 1
		.amdhsa_float_round_mode_32 0
		.amdhsa_float_round_mode_16_64 0
		.amdhsa_float_denorm_mode_32 3
		.amdhsa_float_denorm_mode_16_64 3
		.amdhsa_dx10_clamp 1
		.amdhsa_ieee_mode 1
		.amdhsa_fp16_overflow 0
		.amdhsa_workgroup_processor_mode 1
		.amdhsa_memory_ordered 1
		.amdhsa_forward_progress 0
		.amdhsa_shared_vgpr_count 0
		.amdhsa_exception_fp_ieee_invalid_op 0
		.amdhsa_exception_fp_denorm_src 0
		.amdhsa_exception_fp_ieee_div_zero 0
		.amdhsa_exception_fp_ieee_overflow 0
		.amdhsa_exception_fp_ieee_underflow 0
		.amdhsa_exception_fp_ieee_inexact 0
		.amdhsa_exception_int_div_zero 0
	.end_amdhsa_kernel
	.section	.text._Z33tail_segmented_warp_reduce_kernelIfhLj32ELj4EENSt9enable_ifIXsr10test_utilsE35device_test_enabled_for_warp_size_vIXT2_EEEvE4typeEPT_PT0_S4_,"axG",@progbits,_Z33tail_segmented_warp_reduce_kernelIfhLj32ELj4EENSt9enable_ifIXsr10test_utilsE35device_test_enabled_for_warp_size_vIXT2_EEEvE4typeEPT_PT0_S4_,comdat
.Lfunc_end239:
	.size	_Z33tail_segmented_warp_reduce_kernelIfhLj32ELj4EENSt9enable_ifIXsr10test_utilsE35device_test_enabled_for_warp_size_vIXT2_EEEvE4typeEPT_PT0_S4_, .Lfunc_end239-_Z33tail_segmented_warp_reduce_kernelIfhLj32ELj4EENSt9enable_ifIXsr10test_utilsE35device_test_enabled_for_warp_size_vIXT2_EEEvE4typeEPT_PT0_S4_
                                        ; -- End function
	.section	.AMDGPU.csdata,"",@progbits
; Kernel info:
; codeLenInByte = 308
; NumSgprs: 18
; NumVgprs: 8
; ScratchSize: 0
; MemoryBound: 0
; FloatMode: 240
; IeeeMode: 1
; LDSByteSize: 0 bytes/workgroup (compile time only)
; SGPRBlocks: 2
; VGPRBlocks: 0
; NumSGPRsForWavesPerEU: 18
; NumVGPRsForWavesPerEU: 8
; Occupancy: 16
; WaveLimiterHint : 0
; COMPUTE_PGM_RSRC2:SCRATCH_EN: 0
; COMPUTE_PGM_RSRC2:USER_SGPR: 15
; COMPUTE_PGM_RSRC2:TRAP_HANDLER: 0
; COMPUTE_PGM_RSRC2:TGID_X_EN: 1
; COMPUTE_PGM_RSRC2:TGID_Y_EN: 0
; COMPUTE_PGM_RSRC2:TGID_Z_EN: 0
; COMPUTE_PGM_RSRC2:TIDIG_COMP_CNT: 0
	.section	.text._Z33tail_segmented_warp_reduce_kernelIfhLj64ELj4EENSt9enable_ifIXsr10test_utilsE35device_test_enabled_for_warp_size_vIXT2_EEEvE4typeEPT_PT0_S4_,"axG",@progbits,_Z33tail_segmented_warp_reduce_kernelIfhLj64ELj4EENSt9enable_ifIXsr10test_utilsE35device_test_enabled_for_warp_size_vIXT2_EEEvE4typeEPT_PT0_S4_,comdat
	.protected	_Z33tail_segmented_warp_reduce_kernelIfhLj64ELj4EENSt9enable_ifIXsr10test_utilsE35device_test_enabled_for_warp_size_vIXT2_EEEvE4typeEPT_PT0_S4_ ; -- Begin function _Z33tail_segmented_warp_reduce_kernelIfhLj64ELj4EENSt9enable_ifIXsr10test_utilsE35device_test_enabled_for_warp_size_vIXT2_EEEvE4typeEPT_PT0_S4_
	.globl	_Z33tail_segmented_warp_reduce_kernelIfhLj64ELj4EENSt9enable_ifIXsr10test_utilsE35device_test_enabled_for_warp_size_vIXT2_EEEvE4typeEPT_PT0_S4_
	.p2align	8
	.type	_Z33tail_segmented_warp_reduce_kernelIfhLj64ELj4EENSt9enable_ifIXsr10test_utilsE35device_test_enabled_for_warp_size_vIXT2_EEEvE4typeEPT_PT0_S4_,@function
_Z33tail_segmented_warp_reduce_kernelIfhLj64ELj4EENSt9enable_ifIXsr10test_utilsE35device_test_enabled_for_warp_size_vIXT2_EEEvE4typeEPT_PT0_S4_: ; @_Z33tail_segmented_warp_reduce_kernelIfhLj64ELj4EENSt9enable_ifIXsr10test_utilsE35device_test_enabled_for_warp_size_vIXT2_EEEvE4typeEPT_PT0_S4_
; %bb.0:
	s_clause 0x1
	s_load_b32 s2, s[0:1], 0x24
	s_load_b128 s[4:7], s[0:1], 0x0
	s_waitcnt lgkmcnt(0)
	s_and_b32 s2, s2, 0xffff
	s_delay_alu instid0(SALU_CYCLE_1) | instskip(SKIP_2) | instid1(VALU_DEP_1)
	v_mad_u64_u32 v[1:2], null, s15, s2, v[0:1]
	v_mov_b32_e32 v2, 0
	s_load_b64 s[2:3], s[0:1], 0x10
	v_lshlrev_b64 v[2:3], 2, v[1:2]
	s_delay_alu instid0(VALU_DEP_1) | instskip(NEXT) | instid1(VALU_DEP_2)
	v_add_co_u32 v4, vcc_lo, s4, v2
	v_add_co_ci_u32_e32 v5, vcc_lo, s5, v3, vcc_lo
	global_load_u8 v0, v1, s[6:7]
	global_load_b32 v1, v[4:5], off
	v_mbcnt_lo_u32_b32 v4, -1, 0
	s_delay_alu instid0(VALU_DEP_1) | instskip(SKIP_1) | instid1(VALU_DEP_2)
	v_and_b32_e32 v5, 3, v4
	v_lshlrev_b32_e64 v7, v4, -1
	v_cmp_ne_u32_e32 vcc_lo, 3, v5
	v_add_co_ci_u32_e32 v6, vcc_lo, 0, v4, vcc_lo
	s_delay_alu instid0(VALU_DEP_1)
	v_lshlrev_b32_e32 v6, 2, v6
	s_waitcnt vmcnt(1)
	v_cmp_ne_u16_e32 vcc_lo, 0, v0
	s_waitcnt vmcnt(0)
	ds_bpermute_b32 v0, v6, v1
	v_and_b32_e32 v6, 28, v4
	v_and_b32_e32 v7, vcc_lo, v7
	v_cmp_gt_u32_e32 vcc_lo, 2, v5
	s_waitcnt lgkmcnt(0)
	v_add_f32_e32 v0, v1, v0
	s_delay_alu instid0(VALU_DEP_3) | instskip(SKIP_1) | instid1(VALU_DEP_2)
	v_lshrrev_b32_e32 v6, v6, v7
	v_cndmask_b32_e64 v7, 0, 1, vcc_lo
	v_or_b32_e32 v6, 8, v6
	s_delay_alu instid0(VALU_DEP_1) | instskip(NEXT) | instid1(VALU_DEP_1)
	v_ctz_i32_b32_e32 v6, v6
	v_cmp_lt_u32_e32 vcc_lo, v5, v6
	s_delay_alu instid0(VALU_DEP_4) | instskip(NEXT) | instid1(VALU_DEP_1)
	v_dual_cndmask_b32 v0, v1, v0 :: v_dual_lshlrev_b32 v7, 1, v7
	v_add_lshl_u32 v4, v7, v4, 2
	ds_bpermute_b32 v4, v4, v0
	s_waitcnt lgkmcnt(0)
	v_dual_add_f32 v4, v0, v4 :: v_dual_add_nc_u32 v5, 2, v5
	s_delay_alu instid0(VALU_DEP_1) | instskip(NEXT) | instid1(VALU_DEP_1)
	v_cmp_gt_u32_e64 s0, v5, v6
	v_cndmask_b32_e64 v0, v4, v0, s0
	s_delay_alu instid0(VALU_DEP_1)
	v_cndmask_b32_e32 v4, v1, v0, vcc_lo
	v_add_co_u32 v0, vcc_lo, s2, v2
	v_add_co_ci_u32_e32 v1, vcc_lo, s3, v3, vcc_lo
	global_store_b32 v[0:1], v4, off
	s_nop 0
	s_sendmsg sendmsg(MSG_DEALLOC_VGPRS)
	s_endpgm
	.section	.rodata,"a",@progbits
	.p2align	6, 0x0
	.amdhsa_kernel _Z33tail_segmented_warp_reduce_kernelIfhLj64ELj4EENSt9enable_ifIXsr10test_utilsE35device_test_enabled_for_warp_size_vIXT2_EEEvE4typeEPT_PT0_S4_
		.amdhsa_group_segment_fixed_size 0
		.amdhsa_private_segment_fixed_size 0
		.amdhsa_kernarg_size 280
		.amdhsa_user_sgpr_count 15
		.amdhsa_user_sgpr_dispatch_ptr 0
		.amdhsa_user_sgpr_queue_ptr 0
		.amdhsa_user_sgpr_kernarg_segment_ptr 1
		.amdhsa_user_sgpr_dispatch_id 0
		.amdhsa_user_sgpr_private_segment_size 0
		.amdhsa_wavefront_size32 1
		.amdhsa_uses_dynamic_stack 0
		.amdhsa_enable_private_segment 0
		.amdhsa_system_sgpr_workgroup_id_x 1
		.amdhsa_system_sgpr_workgroup_id_y 0
		.amdhsa_system_sgpr_workgroup_id_z 0
		.amdhsa_system_sgpr_workgroup_info 0
		.amdhsa_system_vgpr_workitem_id 0
		.amdhsa_next_free_vgpr 8
		.amdhsa_next_free_sgpr 16
		.amdhsa_reserve_vcc 1
		.amdhsa_float_round_mode_32 0
		.amdhsa_float_round_mode_16_64 0
		.amdhsa_float_denorm_mode_32 3
		.amdhsa_float_denorm_mode_16_64 3
		.amdhsa_dx10_clamp 1
		.amdhsa_ieee_mode 1
		.amdhsa_fp16_overflow 0
		.amdhsa_workgroup_processor_mode 1
		.amdhsa_memory_ordered 1
		.amdhsa_forward_progress 0
		.amdhsa_shared_vgpr_count 0
		.amdhsa_exception_fp_ieee_invalid_op 0
		.amdhsa_exception_fp_denorm_src 0
		.amdhsa_exception_fp_ieee_div_zero 0
		.amdhsa_exception_fp_ieee_overflow 0
		.amdhsa_exception_fp_ieee_underflow 0
		.amdhsa_exception_fp_ieee_inexact 0
		.amdhsa_exception_int_div_zero 0
	.end_amdhsa_kernel
	.section	.text._Z33tail_segmented_warp_reduce_kernelIfhLj64ELj4EENSt9enable_ifIXsr10test_utilsE35device_test_enabled_for_warp_size_vIXT2_EEEvE4typeEPT_PT0_S4_,"axG",@progbits,_Z33tail_segmented_warp_reduce_kernelIfhLj64ELj4EENSt9enable_ifIXsr10test_utilsE35device_test_enabled_for_warp_size_vIXT2_EEEvE4typeEPT_PT0_S4_,comdat
.Lfunc_end240:
	.size	_Z33tail_segmented_warp_reduce_kernelIfhLj64ELj4EENSt9enable_ifIXsr10test_utilsE35device_test_enabled_for_warp_size_vIXT2_EEEvE4typeEPT_PT0_S4_, .Lfunc_end240-_Z33tail_segmented_warp_reduce_kernelIfhLj64ELj4EENSt9enable_ifIXsr10test_utilsE35device_test_enabled_for_warp_size_vIXT2_EEEvE4typeEPT_PT0_S4_
                                        ; -- End function
	.section	.AMDGPU.csdata,"",@progbits
; Kernel info:
; codeLenInByte = 308
; NumSgprs: 18
; NumVgprs: 8
; ScratchSize: 0
; MemoryBound: 0
; FloatMode: 240
; IeeeMode: 1
; LDSByteSize: 0 bytes/workgroup (compile time only)
; SGPRBlocks: 2
; VGPRBlocks: 0
; NumSGPRsForWavesPerEU: 18
; NumVGPRsForWavesPerEU: 8
; Occupancy: 16
; WaveLimiterHint : 0
; COMPUTE_PGM_RSRC2:SCRATCH_EN: 0
; COMPUTE_PGM_RSRC2:USER_SGPR: 15
; COMPUTE_PGM_RSRC2:TRAP_HANDLER: 0
; COMPUTE_PGM_RSRC2:TGID_X_EN: 1
; COMPUTE_PGM_RSRC2:TGID_Y_EN: 0
; COMPUTE_PGM_RSRC2:TGID_Z_EN: 0
; COMPUTE_PGM_RSRC2:TIDIG_COMP_CNT: 0
	.section	.text._Z33tail_segmented_warp_reduce_kernelIfhLj32ELj2EENSt9enable_ifIXsr10test_utilsE35device_test_enabled_for_warp_size_vIXT2_EEEvE4typeEPT_PT0_S4_,"axG",@progbits,_Z33tail_segmented_warp_reduce_kernelIfhLj32ELj2EENSt9enable_ifIXsr10test_utilsE35device_test_enabled_for_warp_size_vIXT2_EEEvE4typeEPT_PT0_S4_,comdat
	.protected	_Z33tail_segmented_warp_reduce_kernelIfhLj32ELj2EENSt9enable_ifIXsr10test_utilsE35device_test_enabled_for_warp_size_vIXT2_EEEvE4typeEPT_PT0_S4_ ; -- Begin function _Z33tail_segmented_warp_reduce_kernelIfhLj32ELj2EENSt9enable_ifIXsr10test_utilsE35device_test_enabled_for_warp_size_vIXT2_EEEvE4typeEPT_PT0_S4_
	.globl	_Z33tail_segmented_warp_reduce_kernelIfhLj32ELj2EENSt9enable_ifIXsr10test_utilsE35device_test_enabled_for_warp_size_vIXT2_EEEvE4typeEPT_PT0_S4_
	.p2align	8
	.type	_Z33tail_segmented_warp_reduce_kernelIfhLj32ELj2EENSt9enable_ifIXsr10test_utilsE35device_test_enabled_for_warp_size_vIXT2_EEEvE4typeEPT_PT0_S4_,@function
_Z33tail_segmented_warp_reduce_kernelIfhLj32ELj2EENSt9enable_ifIXsr10test_utilsE35device_test_enabled_for_warp_size_vIXT2_EEEvE4typeEPT_PT0_S4_: ; @_Z33tail_segmented_warp_reduce_kernelIfhLj32ELj2EENSt9enable_ifIXsr10test_utilsE35device_test_enabled_for_warp_size_vIXT2_EEEvE4typeEPT_PT0_S4_
; %bb.0:
	s_clause 0x2
	s_load_b32 s2, s[0:1], 0x24
	s_load_b128 s[4:7], s[0:1], 0x0
	s_load_b64 s[0:1], s[0:1], 0x10
	s_waitcnt lgkmcnt(0)
	s_and_b32 s2, s2, 0xffff
	s_delay_alu instid0(SALU_CYCLE_1) | instskip(SKIP_1) | instid1(VALU_DEP_1)
	v_mad_u64_u32 v[1:2], null, s15, s2, v[0:1]
	v_mov_b32_e32 v2, 0
	v_lshlrev_b64 v[2:3], 2, v[1:2]
	s_delay_alu instid0(VALU_DEP_1) | instskip(NEXT) | instid1(VALU_DEP_2)
	v_add_co_u32 v4, vcc_lo, s4, v2
	v_add_co_ci_u32_e32 v5, vcc_lo, s5, v3, vcc_lo
	global_load_u8 v0, v1, s[6:7]
	global_load_b32 v1, v[4:5], off
	v_mbcnt_lo_u32_b32 v4, -1, 0
	s_delay_alu instid0(VALU_DEP_1)
	v_lshl_or_b32 v5, v4, 2, 4
	v_lshlrev_b32_e64 v6, v4, -1
	s_waitcnt vmcnt(1)
	v_cmp_ne_u16_e32 vcc_lo, 0, v0
	s_waitcnt vmcnt(0)
	ds_bpermute_b32 v0, v5, v1
	v_and_b32_e32 v5, 30, v4
	v_and_b32_e32 v4, 1, v4
	v_and_b32_e32 v6, vcc_lo, v6
	s_delay_alu instid0(VALU_DEP_1) | instskip(NEXT) | instid1(VALU_DEP_1)
	v_lshrrev_b32_e32 v5, v5, v6
	v_or_b32_e32 v5, 2, v5
	s_delay_alu instid0(VALU_DEP_1) | instskip(SKIP_2) | instid1(VALU_DEP_2)
	v_ctz_i32_b32_e32 v5, v5
	s_waitcnt lgkmcnt(0)
	v_add_f32_e32 v0, v1, v0
	v_cmp_lt_u32_e32 vcc_lo, v4, v5
	s_delay_alu instid0(VALU_DEP_2)
	v_cndmask_b32_e32 v4, v1, v0, vcc_lo
	v_add_co_u32 v0, vcc_lo, s0, v2
	v_add_co_ci_u32_e32 v1, vcc_lo, s1, v3, vcc_lo
	global_store_b32 v[0:1], v4, off
	s_nop 0
	s_sendmsg sendmsg(MSG_DEALLOC_VGPRS)
	s_endpgm
	.section	.rodata,"a",@progbits
	.p2align	6, 0x0
	.amdhsa_kernel _Z33tail_segmented_warp_reduce_kernelIfhLj32ELj2EENSt9enable_ifIXsr10test_utilsE35device_test_enabled_for_warp_size_vIXT2_EEEvE4typeEPT_PT0_S4_
		.amdhsa_group_segment_fixed_size 0
		.amdhsa_private_segment_fixed_size 0
		.amdhsa_kernarg_size 280
		.amdhsa_user_sgpr_count 15
		.amdhsa_user_sgpr_dispatch_ptr 0
		.amdhsa_user_sgpr_queue_ptr 0
		.amdhsa_user_sgpr_kernarg_segment_ptr 1
		.amdhsa_user_sgpr_dispatch_id 0
		.amdhsa_user_sgpr_private_segment_size 0
		.amdhsa_wavefront_size32 1
		.amdhsa_uses_dynamic_stack 0
		.amdhsa_enable_private_segment 0
		.amdhsa_system_sgpr_workgroup_id_x 1
		.amdhsa_system_sgpr_workgroup_id_y 0
		.amdhsa_system_sgpr_workgroup_id_z 0
		.amdhsa_system_sgpr_workgroup_info 0
		.amdhsa_system_vgpr_workitem_id 0
		.amdhsa_next_free_vgpr 7
		.amdhsa_next_free_sgpr 16
		.amdhsa_reserve_vcc 1
		.amdhsa_float_round_mode_32 0
		.amdhsa_float_round_mode_16_64 0
		.amdhsa_float_denorm_mode_32 3
		.amdhsa_float_denorm_mode_16_64 3
		.amdhsa_dx10_clamp 1
		.amdhsa_ieee_mode 1
		.amdhsa_fp16_overflow 0
		.amdhsa_workgroup_processor_mode 1
		.amdhsa_memory_ordered 1
		.amdhsa_forward_progress 0
		.amdhsa_shared_vgpr_count 0
		.amdhsa_exception_fp_ieee_invalid_op 0
		.amdhsa_exception_fp_denorm_src 0
		.amdhsa_exception_fp_ieee_div_zero 0
		.amdhsa_exception_fp_ieee_overflow 0
		.amdhsa_exception_fp_ieee_underflow 0
		.amdhsa_exception_fp_ieee_inexact 0
		.amdhsa_exception_int_div_zero 0
	.end_amdhsa_kernel
	.section	.text._Z33tail_segmented_warp_reduce_kernelIfhLj32ELj2EENSt9enable_ifIXsr10test_utilsE35device_test_enabled_for_warp_size_vIXT2_EEEvE4typeEPT_PT0_S4_,"axG",@progbits,_Z33tail_segmented_warp_reduce_kernelIfhLj32ELj2EENSt9enable_ifIXsr10test_utilsE35device_test_enabled_for_warp_size_vIXT2_EEEvE4typeEPT_PT0_S4_,comdat
.Lfunc_end241:
	.size	_Z33tail_segmented_warp_reduce_kernelIfhLj32ELj2EENSt9enable_ifIXsr10test_utilsE35device_test_enabled_for_warp_size_vIXT2_EEEvE4typeEPT_PT0_S4_, .Lfunc_end241-_Z33tail_segmented_warp_reduce_kernelIfhLj32ELj2EENSt9enable_ifIXsr10test_utilsE35device_test_enabled_for_warp_size_vIXT2_EEEvE4typeEPT_PT0_S4_
                                        ; -- End function
	.section	.AMDGPU.csdata,"",@progbits
; Kernel info:
; codeLenInByte = 228
; NumSgprs: 18
; NumVgprs: 7
; ScratchSize: 0
; MemoryBound: 0
; FloatMode: 240
; IeeeMode: 1
; LDSByteSize: 0 bytes/workgroup (compile time only)
; SGPRBlocks: 2
; VGPRBlocks: 0
; NumSGPRsForWavesPerEU: 18
; NumVGPRsForWavesPerEU: 7
; Occupancy: 16
; WaveLimiterHint : 0
; COMPUTE_PGM_RSRC2:SCRATCH_EN: 0
; COMPUTE_PGM_RSRC2:USER_SGPR: 15
; COMPUTE_PGM_RSRC2:TRAP_HANDLER: 0
; COMPUTE_PGM_RSRC2:TGID_X_EN: 1
; COMPUTE_PGM_RSRC2:TGID_Y_EN: 0
; COMPUTE_PGM_RSRC2:TGID_Z_EN: 0
; COMPUTE_PGM_RSRC2:TIDIG_COMP_CNT: 0
	.section	.text._Z33tail_segmented_warp_reduce_kernelIfhLj64ELj2EENSt9enable_ifIXsr10test_utilsE35device_test_enabled_for_warp_size_vIXT2_EEEvE4typeEPT_PT0_S4_,"axG",@progbits,_Z33tail_segmented_warp_reduce_kernelIfhLj64ELj2EENSt9enable_ifIXsr10test_utilsE35device_test_enabled_for_warp_size_vIXT2_EEEvE4typeEPT_PT0_S4_,comdat
	.protected	_Z33tail_segmented_warp_reduce_kernelIfhLj64ELj2EENSt9enable_ifIXsr10test_utilsE35device_test_enabled_for_warp_size_vIXT2_EEEvE4typeEPT_PT0_S4_ ; -- Begin function _Z33tail_segmented_warp_reduce_kernelIfhLj64ELj2EENSt9enable_ifIXsr10test_utilsE35device_test_enabled_for_warp_size_vIXT2_EEEvE4typeEPT_PT0_S4_
	.globl	_Z33tail_segmented_warp_reduce_kernelIfhLj64ELj2EENSt9enable_ifIXsr10test_utilsE35device_test_enabled_for_warp_size_vIXT2_EEEvE4typeEPT_PT0_S4_
	.p2align	8
	.type	_Z33tail_segmented_warp_reduce_kernelIfhLj64ELj2EENSt9enable_ifIXsr10test_utilsE35device_test_enabled_for_warp_size_vIXT2_EEEvE4typeEPT_PT0_S4_,@function
_Z33tail_segmented_warp_reduce_kernelIfhLj64ELj2EENSt9enable_ifIXsr10test_utilsE35device_test_enabled_for_warp_size_vIXT2_EEEvE4typeEPT_PT0_S4_: ; @_Z33tail_segmented_warp_reduce_kernelIfhLj64ELj2EENSt9enable_ifIXsr10test_utilsE35device_test_enabled_for_warp_size_vIXT2_EEEvE4typeEPT_PT0_S4_
; %bb.0:
	s_clause 0x2
	s_load_b32 s2, s[0:1], 0x24
	s_load_b128 s[4:7], s[0:1], 0x0
	s_load_b64 s[0:1], s[0:1], 0x10
	s_waitcnt lgkmcnt(0)
	s_and_b32 s2, s2, 0xffff
	s_delay_alu instid0(SALU_CYCLE_1) | instskip(SKIP_1) | instid1(VALU_DEP_1)
	v_mad_u64_u32 v[1:2], null, s15, s2, v[0:1]
	v_mov_b32_e32 v2, 0
	v_lshlrev_b64 v[2:3], 2, v[1:2]
	s_delay_alu instid0(VALU_DEP_1) | instskip(NEXT) | instid1(VALU_DEP_2)
	v_add_co_u32 v4, vcc_lo, s4, v2
	v_add_co_ci_u32_e32 v5, vcc_lo, s5, v3, vcc_lo
	global_load_u8 v0, v1, s[6:7]
	global_load_b32 v1, v[4:5], off
	v_mbcnt_lo_u32_b32 v4, -1, 0
	s_delay_alu instid0(VALU_DEP_1)
	v_lshl_or_b32 v5, v4, 2, 4
	v_lshlrev_b32_e64 v6, v4, -1
	s_waitcnt vmcnt(1)
	v_cmp_ne_u16_e32 vcc_lo, 0, v0
	s_waitcnt vmcnt(0)
	ds_bpermute_b32 v0, v5, v1
	v_and_b32_e32 v5, 30, v4
	v_and_b32_e32 v4, 1, v4
	v_and_b32_e32 v6, vcc_lo, v6
	s_delay_alu instid0(VALU_DEP_1) | instskip(NEXT) | instid1(VALU_DEP_1)
	v_lshrrev_b32_e32 v5, v5, v6
	v_or_b32_e32 v5, 2, v5
	s_delay_alu instid0(VALU_DEP_1) | instskip(SKIP_2) | instid1(VALU_DEP_2)
	v_ctz_i32_b32_e32 v5, v5
	s_waitcnt lgkmcnt(0)
	v_add_f32_e32 v0, v1, v0
	v_cmp_lt_u32_e32 vcc_lo, v4, v5
	s_delay_alu instid0(VALU_DEP_2)
	v_cndmask_b32_e32 v4, v1, v0, vcc_lo
	v_add_co_u32 v0, vcc_lo, s0, v2
	v_add_co_ci_u32_e32 v1, vcc_lo, s1, v3, vcc_lo
	global_store_b32 v[0:1], v4, off
	s_nop 0
	s_sendmsg sendmsg(MSG_DEALLOC_VGPRS)
	s_endpgm
	.section	.rodata,"a",@progbits
	.p2align	6, 0x0
	.amdhsa_kernel _Z33tail_segmented_warp_reduce_kernelIfhLj64ELj2EENSt9enable_ifIXsr10test_utilsE35device_test_enabled_for_warp_size_vIXT2_EEEvE4typeEPT_PT0_S4_
		.amdhsa_group_segment_fixed_size 0
		.amdhsa_private_segment_fixed_size 0
		.amdhsa_kernarg_size 280
		.amdhsa_user_sgpr_count 15
		.amdhsa_user_sgpr_dispatch_ptr 0
		.amdhsa_user_sgpr_queue_ptr 0
		.amdhsa_user_sgpr_kernarg_segment_ptr 1
		.amdhsa_user_sgpr_dispatch_id 0
		.amdhsa_user_sgpr_private_segment_size 0
		.amdhsa_wavefront_size32 1
		.amdhsa_uses_dynamic_stack 0
		.amdhsa_enable_private_segment 0
		.amdhsa_system_sgpr_workgroup_id_x 1
		.amdhsa_system_sgpr_workgroup_id_y 0
		.amdhsa_system_sgpr_workgroup_id_z 0
		.amdhsa_system_sgpr_workgroup_info 0
		.amdhsa_system_vgpr_workitem_id 0
		.amdhsa_next_free_vgpr 7
		.amdhsa_next_free_sgpr 16
		.amdhsa_reserve_vcc 1
		.amdhsa_float_round_mode_32 0
		.amdhsa_float_round_mode_16_64 0
		.amdhsa_float_denorm_mode_32 3
		.amdhsa_float_denorm_mode_16_64 3
		.amdhsa_dx10_clamp 1
		.amdhsa_ieee_mode 1
		.amdhsa_fp16_overflow 0
		.amdhsa_workgroup_processor_mode 1
		.amdhsa_memory_ordered 1
		.amdhsa_forward_progress 0
		.amdhsa_shared_vgpr_count 0
		.amdhsa_exception_fp_ieee_invalid_op 0
		.amdhsa_exception_fp_denorm_src 0
		.amdhsa_exception_fp_ieee_div_zero 0
		.amdhsa_exception_fp_ieee_overflow 0
		.amdhsa_exception_fp_ieee_underflow 0
		.amdhsa_exception_fp_ieee_inexact 0
		.amdhsa_exception_int_div_zero 0
	.end_amdhsa_kernel
	.section	.text._Z33tail_segmented_warp_reduce_kernelIfhLj64ELj2EENSt9enable_ifIXsr10test_utilsE35device_test_enabled_for_warp_size_vIXT2_EEEvE4typeEPT_PT0_S4_,"axG",@progbits,_Z33tail_segmented_warp_reduce_kernelIfhLj64ELj2EENSt9enable_ifIXsr10test_utilsE35device_test_enabled_for_warp_size_vIXT2_EEEvE4typeEPT_PT0_S4_,comdat
.Lfunc_end242:
	.size	_Z33tail_segmented_warp_reduce_kernelIfhLj64ELj2EENSt9enable_ifIXsr10test_utilsE35device_test_enabled_for_warp_size_vIXT2_EEEvE4typeEPT_PT0_S4_, .Lfunc_end242-_Z33tail_segmented_warp_reduce_kernelIfhLj64ELj2EENSt9enable_ifIXsr10test_utilsE35device_test_enabled_for_warp_size_vIXT2_EEEvE4typeEPT_PT0_S4_
                                        ; -- End function
	.section	.AMDGPU.csdata,"",@progbits
; Kernel info:
; codeLenInByte = 228
; NumSgprs: 18
; NumVgprs: 7
; ScratchSize: 0
; MemoryBound: 0
; FloatMode: 240
; IeeeMode: 1
; LDSByteSize: 0 bytes/workgroup (compile time only)
; SGPRBlocks: 2
; VGPRBlocks: 0
; NumSGPRsForWavesPerEU: 18
; NumVGPRsForWavesPerEU: 7
; Occupancy: 16
; WaveLimiterHint : 0
; COMPUTE_PGM_RSRC2:SCRATCH_EN: 0
; COMPUTE_PGM_RSRC2:USER_SGPR: 15
; COMPUTE_PGM_RSRC2:TRAP_HANDLER: 0
; COMPUTE_PGM_RSRC2:TGID_X_EN: 1
; COMPUTE_PGM_RSRC2:TGID_Y_EN: 0
; COMPUTE_PGM_RSRC2:TGID_Z_EN: 0
; COMPUTE_PGM_RSRC2:TIDIG_COMP_CNT: 0
	.section	.text._Z33tail_segmented_warp_reduce_kernelIfhLj32ELj1EENSt9enable_ifIXsr10test_utilsE35device_test_enabled_for_warp_size_vIXT2_EEEvE4typeEPT_PT0_S4_,"axG",@progbits,_Z33tail_segmented_warp_reduce_kernelIfhLj32ELj1EENSt9enable_ifIXsr10test_utilsE35device_test_enabled_for_warp_size_vIXT2_EEEvE4typeEPT_PT0_S4_,comdat
	.protected	_Z33tail_segmented_warp_reduce_kernelIfhLj32ELj1EENSt9enable_ifIXsr10test_utilsE35device_test_enabled_for_warp_size_vIXT2_EEEvE4typeEPT_PT0_S4_ ; -- Begin function _Z33tail_segmented_warp_reduce_kernelIfhLj32ELj1EENSt9enable_ifIXsr10test_utilsE35device_test_enabled_for_warp_size_vIXT2_EEEvE4typeEPT_PT0_S4_
	.globl	_Z33tail_segmented_warp_reduce_kernelIfhLj32ELj1EENSt9enable_ifIXsr10test_utilsE35device_test_enabled_for_warp_size_vIXT2_EEEvE4typeEPT_PT0_S4_
	.p2align	8
	.type	_Z33tail_segmented_warp_reduce_kernelIfhLj32ELj1EENSt9enable_ifIXsr10test_utilsE35device_test_enabled_for_warp_size_vIXT2_EEEvE4typeEPT_PT0_S4_,@function
_Z33tail_segmented_warp_reduce_kernelIfhLj32ELj1EENSt9enable_ifIXsr10test_utilsE35device_test_enabled_for_warp_size_vIXT2_EEEvE4typeEPT_PT0_S4_: ; @_Z33tail_segmented_warp_reduce_kernelIfhLj32ELj1EENSt9enable_ifIXsr10test_utilsE35device_test_enabled_for_warp_size_vIXT2_EEEvE4typeEPT_PT0_S4_
; %bb.0:
	s_clause 0x2
	s_load_b32 s4, s[0:1], 0x24
	s_load_b64 s[2:3], s[0:1], 0x0
	s_load_b64 s[0:1], s[0:1], 0x10
	s_waitcnt lgkmcnt(0)
	s_and_b32 s4, s4, 0xffff
	s_delay_alu instid0(SALU_CYCLE_1) | instskip(SKIP_1) | instid1(VALU_DEP_1)
	v_mad_u64_u32 v[1:2], null, s15, s4, v[0:1]
	v_mov_b32_e32 v2, 0
	v_lshlrev_b64 v[0:1], 2, v[1:2]
	s_delay_alu instid0(VALU_DEP_1) | instskip(NEXT) | instid1(VALU_DEP_2)
	v_add_co_u32 v2, vcc_lo, s2, v0
	v_add_co_ci_u32_e32 v3, vcc_lo, s3, v1, vcc_lo
	v_add_co_u32 v0, vcc_lo, s0, v0
	v_add_co_ci_u32_e32 v1, vcc_lo, s1, v1, vcc_lo
	global_load_b32 v2, v[2:3], off
	s_waitcnt vmcnt(0)
	global_store_b32 v[0:1], v2, off
	s_nop 0
	s_sendmsg sendmsg(MSG_DEALLOC_VGPRS)
	s_endpgm
	.section	.rodata,"a",@progbits
	.p2align	6, 0x0
	.amdhsa_kernel _Z33tail_segmented_warp_reduce_kernelIfhLj32ELj1EENSt9enable_ifIXsr10test_utilsE35device_test_enabled_for_warp_size_vIXT2_EEEvE4typeEPT_PT0_S4_
		.amdhsa_group_segment_fixed_size 0
		.amdhsa_private_segment_fixed_size 0
		.amdhsa_kernarg_size 280
		.amdhsa_user_sgpr_count 15
		.amdhsa_user_sgpr_dispatch_ptr 0
		.amdhsa_user_sgpr_queue_ptr 0
		.amdhsa_user_sgpr_kernarg_segment_ptr 1
		.amdhsa_user_sgpr_dispatch_id 0
		.amdhsa_user_sgpr_private_segment_size 0
		.amdhsa_wavefront_size32 1
		.amdhsa_uses_dynamic_stack 0
		.amdhsa_enable_private_segment 0
		.amdhsa_system_sgpr_workgroup_id_x 1
		.amdhsa_system_sgpr_workgroup_id_y 0
		.amdhsa_system_sgpr_workgroup_id_z 0
		.amdhsa_system_sgpr_workgroup_info 0
		.amdhsa_system_vgpr_workitem_id 0
		.amdhsa_next_free_vgpr 4
		.amdhsa_next_free_sgpr 16
		.amdhsa_reserve_vcc 1
		.amdhsa_float_round_mode_32 0
		.amdhsa_float_round_mode_16_64 0
		.amdhsa_float_denorm_mode_32 3
		.amdhsa_float_denorm_mode_16_64 3
		.amdhsa_dx10_clamp 1
		.amdhsa_ieee_mode 1
		.amdhsa_fp16_overflow 0
		.amdhsa_workgroup_processor_mode 1
		.amdhsa_memory_ordered 1
		.amdhsa_forward_progress 0
		.amdhsa_shared_vgpr_count 0
		.amdhsa_exception_fp_ieee_invalid_op 0
		.amdhsa_exception_fp_denorm_src 0
		.amdhsa_exception_fp_ieee_div_zero 0
		.amdhsa_exception_fp_ieee_overflow 0
		.amdhsa_exception_fp_ieee_underflow 0
		.amdhsa_exception_fp_ieee_inexact 0
		.amdhsa_exception_int_div_zero 0
	.end_amdhsa_kernel
	.section	.text._Z33tail_segmented_warp_reduce_kernelIfhLj32ELj1EENSt9enable_ifIXsr10test_utilsE35device_test_enabled_for_warp_size_vIXT2_EEEvE4typeEPT_PT0_S4_,"axG",@progbits,_Z33tail_segmented_warp_reduce_kernelIfhLj32ELj1EENSt9enable_ifIXsr10test_utilsE35device_test_enabled_for_warp_size_vIXT2_EEEvE4typeEPT_PT0_S4_,comdat
.Lfunc_end243:
	.size	_Z33tail_segmented_warp_reduce_kernelIfhLj32ELj1EENSt9enable_ifIXsr10test_utilsE35device_test_enabled_for_warp_size_vIXT2_EEEvE4typeEPT_PT0_S4_, .Lfunc_end243-_Z33tail_segmented_warp_reduce_kernelIfhLj32ELj1EENSt9enable_ifIXsr10test_utilsE35device_test_enabled_for_warp_size_vIXT2_EEEvE4typeEPT_PT0_S4_
                                        ; -- End function
	.section	.AMDGPU.csdata,"",@progbits
; Kernel info:
; codeLenInByte = 124
; NumSgprs: 18
; NumVgprs: 4
; ScratchSize: 0
; MemoryBound: 0
; FloatMode: 240
; IeeeMode: 1
; LDSByteSize: 0 bytes/workgroup (compile time only)
; SGPRBlocks: 2
; VGPRBlocks: 0
; NumSGPRsForWavesPerEU: 18
; NumVGPRsForWavesPerEU: 4
; Occupancy: 16
; WaveLimiterHint : 0
; COMPUTE_PGM_RSRC2:SCRATCH_EN: 0
; COMPUTE_PGM_RSRC2:USER_SGPR: 15
; COMPUTE_PGM_RSRC2:TRAP_HANDLER: 0
; COMPUTE_PGM_RSRC2:TGID_X_EN: 1
; COMPUTE_PGM_RSRC2:TGID_Y_EN: 0
; COMPUTE_PGM_RSRC2:TGID_Z_EN: 0
; COMPUTE_PGM_RSRC2:TIDIG_COMP_CNT: 0
	.section	.text._Z33tail_segmented_warp_reduce_kernelIfhLj64ELj1EENSt9enable_ifIXsr10test_utilsE35device_test_enabled_for_warp_size_vIXT2_EEEvE4typeEPT_PT0_S4_,"axG",@progbits,_Z33tail_segmented_warp_reduce_kernelIfhLj64ELj1EENSt9enable_ifIXsr10test_utilsE35device_test_enabled_for_warp_size_vIXT2_EEEvE4typeEPT_PT0_S4_,comdat
	.protected	_Z33tail_segmented_warp_reduce_kernelIfhLj64ELj1EENSt9enable_ifIXsr10test_utilsE35device_test_enabled_for_warp_size_vIXT2_EEEvE4typeEPT_PT0_S4_ ; -- Begin function _Z33tail_segmented_warp_reduce_kernelIfhLj64ELj1EENSt9enable_ifIXsr10test_utilsE35device_test_enabled_for_warp_size_vIXT2_EEEvE4typeEPT_PT0_S4_
	.globl	_Z33tail_segmented_warp_reduce_kernelIfhLj64ELj1EENSt9enable_ifIXsr10test_utilsE35device_test_enabled_for_warp_size_vIXT2_EEEvE4typeEPT_PT0_S4_
	.p2align	8
	.type	_Z33tail_segmented_warp_reduce_kernelIfhLj64ELj1EENSt9enable_ifIXsr10test_utilsE35device_test_enabled_for_warp_size_vIXT2_EEEvE4typeEPT_PT0_S4_,@function
_Z33tail_segmented_warp_reduce_kernelIfhLj64ELj1EENSt9enable_ifIXsr10test_utilsE35device_test_enabled_for_warp_size_vIXT2_EEEvE4typeEPT_PT0_S4_: ; @_Z33tail_segmented_warp_reduce_kernelIfhLj64ELj1EENSt9enable_ifIXsr10test_utilsE35device_test_enabled_for_warp_size_vIXT2_EEEvE4typeEPT_PT0_S4_
; %bb.0:
	s_clause 0x2
	s_load_b32 s4, s[0:1], 0x24
	s_load_b64 s[2:3], s[0:1], 0x0
	s_load_b64 s[0:1], s[0:1], 0x10
	s_waitcnt lgkmcnt(0)
	s_and_b32 s4, s4, 0xffff
	s_delay_alu instid0(SALU_CYCLE_1) | instskip(SKIP_1) | instid1(VALU_DEP_1)
	v_mad_u64_u32 v[1:2], null, s15, s4, v[0:1]
	v_mov_b32_e32 v2, 0
	v_lshlrev_b64 v[0:1], 2, v[1:2]
	s_delay_alu instid0(VALU_DEP_1) | instskip(NEXT) | instid1(VALU_DEP_2)
	v_add_co_u32 v2, vcc_lo, s2, v0
	v_add_co_ci_u32_e32 v3, vcc_lo, s3, v1, vcc_lo
	v_add_co_u32 v0, vcc_lo, s0, v0
	v_add_co_ci_u32_e32 v1, vcc_lo, s1, v1, vcc_lo
	global_load_b32 v2, v[2:3], off
	s_waitcnt vmcnt(0)
	global_store_b32 v[0:1], v2, off
	s_nop 0
	s_sendmsg sendmsg(MSG_DEALLOC_VGPRS)
	s_endpgm
	.section	.rodata,"a",@progbits
	.p2align	6, 0x0
	.amdhsa_kernel _Z33tail_segmented_warp_reduce_kernelIfhLj64ELj1EENSt9enable_ifIXsr10test_utilsE35device_test_enabled_for_warp_size_vIXT2_EEEvE4typeEPT_PT0_S4_
		.amdhsa_group_segment_fixed_size 0
		.amdhsa_private_segment_fixed_size 0
		.amdhsa_kernarg_size 280
		.amdhsa_user_sgpr_count 15
		.amdhsa_user_sgpr_dispatch_ptr 0
		.amdhsa_user_sgpr_queue_ptr 0
		.amdhsa_user_sgpr_kernarg_segment_ptr 1
		.amdhsa_user_sgpr_dispatch_id 0
		.amdhsa_user_sgpr_private_segment_size 0
		.amdhsa_wavefront_size32 1
		.amdhsa_uses_dynamic_stack 0
		.amdhsa_enable_private_segment 0
		.amdhsa_system_sgpr_workgroup_id_x 1
		.amdhsa_system_sgpr_workgroup_id_y 0
		.amdhsa_system_sgpr_workgroup_id_z 0
		.amdhsa_system_sgpr_workgroup_info 0
		.amdhsa_system_vgpr_workitem_id 0
		.amdhsa_next_free_vgpr 4
		.amdhsa_next_free_sgpr 16
		.amdhsa_reserve_vcc 1
		.amdhsa_float_round_mode_32 0
		.amdhsa_float_round_mode_16_64 0
		.amdhsa_float_denorm_mode_32 3
		.amdhsa_float_denorm_mode_16_64 3
		.amdhsa_dx10_clamp 1
		.amdhsa_ieee_mode 1
		.amdhsa_fp16_overflow 0
		.amdhsa_workgroup_processor_mode 1
		.amdhsa_memory_ordered 1
		.amdhsa_forward_progress 0
		.amdhsa_shared_vgpr_count 0
		.amdhsa_exception_fp_ieee_invalid_op 0
		.amdhsa_exception_fp_denorm_src 0
		.amdhsa_exception_fp_ieee_div_zero 0
		.amdhsa_exception_fp_ieee_overflow 0
		.amdhsa_exception_fp_ieee_underflow 0
		.amdhsa_exception_fp_ieee_inexact 0
		.amdhsa_exception_int_div_zero 0
	.end_amdhsa_kernel
	.section	.text._Z33tail_segmented_warp_reduce_kernelIfhLj64ELj1EENSt9enable_ifIXsr10test_utilsE35device_test_enabled_for_warp_size_vIXT2_EEEvE4typeEPT_PT0_S4_,"axG",@progbits,_Z33tail_segmented_warp_reduce_kernelIfhLj64ELj1EENSt9enable_ifIXsr10test_utilsE35device_test_enabled_for_warp_size_vIXT2_EEEvE4typeEPT_PT0_S4_,comdat
.Lfunc_end244:
	.size	_Z33tail_segmented_warp_reduce_kernelIfhLj64ELj1EENSt9enable_ifIXsr10test_utilsE35device_test_enabled_for_warp_size_vIXT2_EEEvE4typeEPT_PT0_S4_, .Lfunc_end244-_Z33tail_segmented_warp_reduce_kernelIfhLj64ELj1EENSt9enable_ifIXsr10test_utilsE35device_test_enabled_for_warp_size_vIXT2_EEEvE4typeEPT_PT0_S4_
                                        ; -- End function
	.section	.AMDGPU.csdata,"",@progbits
; Kernel info:
; codeLenInByte = 124
; NumSgprs: 18
; NumVgprs: 4
; ScratchSize: 0
; MemoryBound: 0
; FloatMode: 240
; IeeeMode: 1
; LDSByteSize: 0 bytes/workgroup (compile time only)
; SGPRBlocks: 2
; VGPRBlocks: 0
; NumSGPRsForWavesPerEU: 18
; NumVGPRsForWavesPerEU: 4
; Occupancy: 16
; WaveLimiterHint : 0
; COMPUTE_PGM_RSRC2:SCRATCH_EN: 0
; COMPUTE_PGM_RSRC2:USER_SGPR: 15
; COMPUTE_PGM_RSRC2:TRAP_HANDLER: 0
; COMPUTE_PGM_RSRC2:TGID_X_EN: 1
; COMPUTE_PGM_RSRC2:TGID_Y_EN: 0
; COMPUTE_PGM_RSRC2:TGID_Z_EN: 0
; COMPUTE_PGM_RSRC2:TIDIG_COMP_CNT: 0
	.section	.text._Z33tail_segmented_warp_reduce_kernelIihLj256ELj64EENSt9enable_ifIXntsr10test_utilsE35device_test_enabled_for_warp_size_vIXT2_EEEvE4typeEPT_PT0_S4_,"axG",@progbits,_Z33tail_segmented_warp_reduce_kernelIihLj256ELj64EENSt9enable_ifIXntsr10test_utilsE35device_test_enabled_for_warp_size_vIXT2_EEEvE4typeEPT_PT0_S4_,comdat
	.protected	_Z33tail_segmented_warp_reduce_kernelIihLj256ELj64EENSt9enable_ifIXntsr10test_utilsE35device_test_enabled_for_warp_size_vIXT2_EEEvE4typeEPT_PT0_S4_ ; -- Begin function _Z33tail_segmented_warp_reduce_kernelIihLj256ELj64EENSt9enable_ifIXntsr10test_utilsE35device_test_enabled_for_warp_size_vIXT2_EEEvE4typeEPT_PT0_S4_
	.globl	_Z33tail_segmented_warp_reduce_kernelIihLj256ELj64EENSt9enable_ifIXntsr10test_utilsE35device_test_enabled_for_warp_size_vIXT2_EEEvE4typeEPT_PT0_S4_
	.p2align	8
	.type	_Z33tail_segmented_warp_reduce_kernelIihLj256ELj64EENSt9enable_ifIXntsr10test_utilsE35device_test_enabled_for_warp_size_vIXT2_EEEvE4typeEPT_PT0_S4_,@function
_Z33tail_segmented_warp_reduce_kernelIihLj256ELj64EENSt9enable_ifIXntsr10test_utilsE35device_test_enabled_for_warp_size_vIXT2_EEEvE4typeEPT_PT0_S4_: ; @_Z33tail_segmented_warp_reduce_kernelIihLj256ELj64EENSt9enable_ifIXntsr10test_utilsE35device_test_enabled_for_warp_size_vIXT2_EEEvE4typeEPT_PT0_S4_
; %bb.0:
	s_endpgm
	.section	.rodata,"a",@progbits
	.p2align	6, 0x0
	.amdhsa_kernel _Z33tail_segmented_warp_reduce_kernelIihLj256ELj64EENSt9enable_ifIXntsr10test_utilsE35device_test_enabled_for_warp_size_vIXT2_EEEvE4typeEPT_PT0_S4_
		.amdhsa_group_segment_fixed_size 0
		.amdhsa_private_segment_fixed_size 0
		.amdhsa_kernarg_size 24
		.amdhsa_user_sgpr_count 15
		.amdhsa_user_sgpr_dispatch_ptr 0
		.amdhsa_user_sgpr_queue_ptr 0
		.amdhsa_user_sgpr_kernarg_segment_ptr 1
		.amdhsa_user_sgpr_dispatch_id 0
		.amdhsa_user_sgpr_private_segment_size 0
		.amdhsa_wavefront_size32 1
		.amdhsa_uses_dynamic_stack 0
		.amdhsa_enable_private_segment 0
		.amdhsa_system_sgpr_workgroup_id_x 1
		.amdhsa_system_sgpr_workgroup_id_y 0
		.amdhsa_system_sgpr_workgroup_id_z 0
		.amdhsa_system_sgpr_workgroup_info 0
		.amdhsa_system_vgpr_workitem_id 0
		.amdhsa_next_free_vgpr 1
		.amdhsa_next_free_sgpr 1
		.amdhsa_reserve_vcc 0
		.amdhsa_float_round_mode_32 0
		.amdhsa_float_round_mode_16_64 0
		.amdhsa_float_denorm_mode_32 3
		.amdhsa_float_denorm_mode_16_64 3
		.amdhsa_dx10_clamp 1
		.amdhsa_ieee_mode 1
		.amdhsa_fp16_overflow 0
		.amdhsa_workgroup_processor_mode 1
		.amdhsa_memory_ordered 1
		.amdhsa_forward_progress 0
		.amdhsa_shared_vgpr_count 0
		.amdhsa_exception_fp_ieee_invalid_op 0
		.amdhsa_exception_fp_denorm_src 0
		.amdhsa_exception_fp_ieee_div_zero 0
		.amdhsa_exception_fp_ieee_overflow 0
		.amdhsa_exception_fp_ieee_underflow 0
		.amdhsa_exception_fp_ieee_inexact 0
		.amdhsa_exception_int_div_zero 0
	.end_amdhsa_kernel
	.section	.text._Z33tail_segmented_warp_reduce_kernelIihLj256ELj64EENSt9enable_ifIXntsr10test_utilsE35device_test_enabled_for_warp_size_vIXT2_EEEvE4typeEPT_PT0_S4_,"axG",@progbits,_Z33tail_segmented_warp_reduce_kernelIihLj256ELj64EENSt9enable_ifIXntsr10test_utilsE35device_test_enabled_for_warp_size_vIXT2_EEEvE4typeEPT_PT0_S4_,comdat
.Lfunc_end245:
	.size	_Z33tail_segmented_warp_reduce_kernelIihLj256ELj64EENSt9enable_ifIXntsr10test_utilsE35device_test_enabled_for_warp_size_vIXT2_EEEvE4typeEPT_PT0_S4_, .Lfunc_end245-_Z33tail_segmented_warp_reduce_kernelIihLj256ELj64EENSt9enable_ifIXntsr10test_utilsE35device_test_enabled_for_warp_size_vIXT2_EEEvE4typeEPT_PT0_S4_
                                        ; -- End function
	.section	.AMDGPU.csdata,"",@progbits
; Kernel info:
; codeLenInByte = 4
; NumSgprs: 0
; NumVgprs: 0
; ScratchSize: 0
; MemoryBound: 0
; FloatMode: 240
; IeeeMode: 1
; LDSByteSize: 0 bytes/workgroup (compile time only)
; SGPRBlocks: 0
; VGPRBlocks: 0
; NumSGPRsForWavesPerEU: 1
; NumVGPRsForWavesPerEU: 1
; Occupancy: 16
; WaveLimiterHint : 0
; COMPUTE_PGM_RSRC2:SCRATCH_EN: 0
; COMPUTE_PGM_RSRC2:USER_SGPR: 15
; COMPUTE_PGM_RSRC2:TRAP_HANDLER: 0
; COMPUTE_PGM_RSRC2:TGID_X_EN: 1
; COMPUTE_PGM_RSRC2:TGID_Y_EN: 0
; COMPUTE_PGM_RSRC2:TGID_Z_EN: 0
; COMPUTE_PGM_RSRC2:TIDIG_COMP_CNT: 0
	.section	.text._Z33tail_segmented_warp_reduce_kernelIihLj128ELj32EENSt9enable_ifIXsr10test_utilsE35device_test_enabled_for_warp_size_vIXT2_EEEvE4typeEPT_PT0_S4_,"axG",@progbits,_Z33tail_segmented_warp_reduce_kernelIihLj128ELj32EENSt9enable_ifIXsr10test_utilsE35device_test_enabled_for_warp_size_vIXT2_EEEvE4typeEPT_PT0_S4_,comdat
	.protected	_Z33tail_segmented_warp_reduce_kernelIihLj128ELj32EENSt9enable_ifIXsr10test_utilsE35device_test_enabled_for_warp_size_vIXT2_EEEvE4typeEPT_PT0_S4_ ; -- Begin function _Z33tail_segmented_warp_reduce_kernelIihLj128ELj32EENSt9enable_ifIXsr10test_utilsE35device_test_enabled_for_warp_size_vIXT2_EEEvE4typeEPT_PT0_S4_
	.globl	_Z33tail_segmented_warp_reduce_kernelIihLj128ELj32EENSt9enable_ifIXsr10test_utilsE35device_test_enabled_for_warp_size_vIXT2_EEEvE4typeEPT_PT0_S4_
	.p2align	8
	.type	_Z33tail_segmented_warp_reduce_kernelIihLj128ELj32EENSt9enable_ifIXsr10test_utilsE35device_test_enabled_for_warp_size_vIXT2_EEEvE4typeEPT_PT0_S4_,@function
_Z33tail_segmented_warp_reduce_kernelIihLj128ELj32EENSt9enable_ifIXsr10test_utilsE35device_test_enabled_for_warp_size_vIXT2_EEEvE4typeEPT_PT0_S4_: ; @_Z33tail_segmented_warp_reduce_kernelIihLj128ELj32EENSt9enable_ifIXsr10test_utilsE35device_test_enabled_for_warp_size_vIXT2_EEEvE4typeEPT_PT0_S4_
; %bb.0:
	s_clause 0x2
	s_load_b32 s2, s[0:1], 0x24
	s_load_b128 s[4:7], s[0:1], 0x0
	s_load_b64 s[0:1], s[0:1], 0x10
	s_waitcnt lgkmcnt(0)
	s_and_b32 s2, s2, 0xffff
	s_delay_alu instid0(SALU_CYCLE_1) | instskip(SKIP_1) | instid1(VALU_DEP_1)
	v_mad_u64_u32 v[1:2], null, s15, s2, v[0:1]
	v_mov_b32_e32 v2, 0
	v_lshlrev_b64 v[2:3], 2, v[1:2]
	s_delay_alu instid0(VALU_DEP_1) | instskip(NEXT) | instid1(VALU_DEP_2)
	v_add_co_u32 v4, vcc_lo, s4, v2
	v_add_co_ci_u32_e32 v5, vcc_lo, s5, v3, vcc_lo
	global_load_b32 v0, v[4:5], off
	global_load_u8 v1, v1, s[6:7]
	v_mbcnt_lo_u32_b32 v4, -1, 0
	s_delay_alu instid0(VALU_DEP_1) | instskip(SKIP_2) | instid1(VALU_DEP_1)
	v_cmp_ne_u32_e32 vcc_lo, 31, v4
	v_lshlrev_b32_e64 v6, v4, -1
	v_add_co_ci_u32_e32 v5, vcc_lo, 0, v4, vcc_lo
	v_lshlrev_b32_e32 v5, 2, v5
	s_waitcnt vmcnt(1)
	ds_bpermute_b32 v5, v5, v0
	s_waitcnt vmcnt(0)
	v_cmp_ne_u16_e32 vcc_lo, 0, v1
	v_and_or_b32 v1, v6, vcc_lo, 0x80000000
	v_add_nc_u32_e32 v6, 1, v4
	v_cmp_gt_u32_e32 vcc_lo, 30, v4
	s_delay_alu instid0(VALU_DEP_3) | instskip(SKIP_1) | instid1(VALU_DEP_2)
	v_ctz_i32_b32_e32 v1, v1
	v_cndmask_b32_e64 v7, 0, 1, vcc_lo
	v_cmp_le_u32_e32 vcc_lo, v6, v1
	s_delay_alu instid0(VALU_DEP_2) | instskip(SKIP_3) | instid1(VALU_DEP_3)
	v_lshlrev_b32_e32 v7, 1, v7
	s_waitcnt lgkmcnt(0)
	v_cndmask_b32_e32 v5, 0, v5, vcc_lo
	v_cmp_gt_u32_e32 vcc_lo, 28, v4
	v_add_lshl_u32 v6, v7, v4, 2
	v_add_nc_u32_e32 v7, 2, v4
	s_delay_alu instid0(VALU_DEP_4) | instskip(SKIP_4) | instid1(VALU_DEP_3)
	v_add_nc_u32_e32 v0, v5, v0
	ds_bpermute_b32 v5, v6, v0
	v_cndmask_b32_e64 v6, 0, 1, vcc_lo
	v_cmp_le_u32_e32 vcc_lo, v7, v1
	v_add_nc_u32_e32 v7, 4, v4
	v_lshlrev_b32_e32 v6, 2, v6
	s_delay_alu instid0(VALU_DEP_1) | instskip(SKIP_3) | instid1(VALU_DEP_2)
	v_add_lshl_u32 v6, v6, v4, 2
	s_waitcnt lgkmcnt(0)
	v_cndmask_b32_e32 v5, 0, v5, vcc_lo
	v_cmp_gt_u32_e32 vcc_lo, 24, v4
	v_add_nc_u32_e32 v0, v0, v5
	ds_bpermute_b32 v5, v6, v0
	v_cndmask_b32_e64 v6, 0, 1, vcc_lo
	v_cmp_le_u32_e32 vcc_lo, v7, v1
	v_add_nc_u32_e32 v7, 8, v4
	s_delay_alu instid0(VALU_DEP_3) | instskip(NEXT) | instid1(VALU_DEP_1)
	v_lshlrev_b32_e32 v6, 3, v6
	v_add_lshl_u32 v6, v6, v4, 2
	s_waitcnt lgkmcnt(0)
	v_cndmask_b32_e32 v5, 0, v5, vcc_lo
	v_cmp_gt_u32_e32 vcc_lo, 16, v4
	s_delay_alu instid0(VALU_DEP_2) | instskip(SKIP_3) | instid1(VALU_DEP_2)
	v_add_nc_u32_e32 v0, v0, v5
	ds_bpermute_b32 v5, v6, v0
	v_cndmask_b32_e64 v6, 0, 1, vcc_lo
	v_cmp_le_u32_e32 vcc_lo, v7, v1
	v_lshlrev_b32_e32 v6, 4, v6
	s_delay_alu instid0(VALU_DEP_1) | instskip(SKIP_2) | instid1(VALU_DEP_1)
	v_add_lshl_u32 v6, v6, v4, 2
	s_waitcnt lgkmcnt(0)
	v_dual_cndmask_b32 v5, 0, v5 :: v_dual_add_nc_u32 v4, 16, v4
	v_cmp_le_u32_e32 vcc_lo, v4, v1
	s_delay_alu instid0(VALU_DEP_2) | instskip(SKIP_3) | instid1(VALU_DEP_1)
	v_add_nc_u32_e32 v0, v0, v5
	ds_bpermute_b32 v5, v6, v0
	s_waitcnt lgkmcnt(0)
	v_cndmask_b32_e32 v1, 0, v5, vcc_lo
	v_add_nc_u32_e32 v4, v0, v1
	v_add_co_u32 v0, vcc_lo, s0, v2
	v_add_co_ci_u32_e32 v1, vcc_lo, s1, v3, vcc_lo
	global_store_b32 v[0:1], v4, off
	s_nop 0
	s_sendmsg sendmsg(MSG_DEALLOC_VGPRS)
	s_endpgm
	.section	.rodata,"a",@progbits
	.p2align	6, 0x0
	.amdhsa_kernel _Z33tail_segmented_warp_reduce_kernelIihLj128ELj32EENSt9enable_ifIXsr10test_utilsE35device_test_enabled_for_warp_size_vIXT2_EEEvE4typeEPT_PT0_S4_
		.amdhsa_group_segment_fixed_size 0
		.amdhsa_private_segment_fixed_size 0
		.amdhsa_kernarg_size 280
		.amdhsa_user_sgpr_count 15
		.amdhsa_user_sgpr_dispatch_ptr 0
		.amdhsa_user_sgpr_queue_ptr 0
		.amdhsa_user_sgpr_kernarg_segment_ptr 1
		.amdhsa_user_sgpr_dispatch_id 0
		.amdhsa_user_sgpr_private_segment_size 0
		.amdhsa_wavefront_size32 1
		.amdhsa_uses_dynamic_stack 0
		.amdhsa_enable_private_segment 0
		.amdhsa_system_sgpr_workgroup_id_x 1
		.amdhsa_system_sgpr_workgroup_id_y 0
		.amdhsa_system_sgpr_workgroup_id_z 0
		.amdhsa_system_sgpr_workgroup_info 0
		.amdhsa_system_vgpr_workitem_id 0
		.amdhsa_next_free_vgpr 8
		.amdhsa_next_free_sgpr 16
		.amdhsa_reserve_vcc 1
		.amdhsa_float_round_mode_32 0
		.amdhsa_float_round_mode_16_64 0
		.amdhsa_float_denorm_mode_32 3
		.amdhsa_float_denorm_mode_16_64 3
		.amdhsa_dx10_clamp 1
		.amdhsa_ieee_mode 1
		.amdhsa_fp16_overflow 0
		.amdhsa_workgroup_processor_mode 1
		.amdhsa_memory_ordered 1
		.amdhsa_forward_progress 0
		.amdhsa_shared_vgpr_count 0
		.amdhsa_exception_fp_ieee_invalid_op 0
		.amdhsa_exception_fp_denorm_src 0
		.amdhsa_exception_fp_ieee_div_zero 0
		.amdhsa_exception_fp_ieee_overflow 0
		.amdhsa_exception_fp_ieee_underflow 0
		.amdhsa_exception_fp_ieee_inexact 0
		.amdhsa_exception_int_div_zero 0
	.end_amdhsa_kernel
	.section	.text._Z33tail_segmented_warp_reduce_kernelIihLj128ELj32EENSt9enable_ifIXsr10test_utilsE35device_test_enabled_for_warp_size_vIXT2_EEEvE4typeEPT_PT0_S4_,"axG",@progbits,_Z33tail_segmented_warp_reduce_kernelIihLj128ELj32EENSt9enable_ifIXsr10test_utilsE35device_test_enabled_for_warp_size_vIXT2_EEEvE4typeEPT_PT0_S4_,comdat
.Lfunc_end246:
	.size	_Z33tail_segmented_warp_reduce_kernelIihLj128ELj32EENSt9enable_ifIXsr10test_utilsE35device_test_enabled_for_warp_size_vIXT2_EEEvE4typeEPT_PT0_S4_, .Lfunc_end246-_Z33tail_segmented_warp_reduce_kernelIihLj128ELj32EENSt9enable_ifIXsr10test_utilsE35device_test_enabled_for_warp_size_vIXT2_EEEvE4typeEPT_PT0_S4_
                                        ; -- End function
	.section	.AMDGPU.csdata,"",@progbits
; Kernel info:
; codeLenInByte = 456
; NumSgprs: 18
; NumVgprs: 8
; ScratchSize: 0
; MemoryBound: 0
; FloatMode: 240
; IeeeMode: 1
; LDSByteSize: 0 bytes/workgroup (compile time only)
; SGPRBlocks: 2
; VGPRBlocks: 0
; NumSGPRsForWavesPerEU: 18
; NumVGPRsForWavesPerEU: 8
; Occupancy: 16
; WaveLimiterHint : 0
; COMPUTE_PGM_RSRC2:SCRATCH_EN: 0
; COMPUTE_PGM_RSRC2:USER_SGPR: 15
; COMPUTE_PGM_RSRC2:TRAP_HANDLER: 0
; COMPUTE_PGM_RSRC2:TGID_X_EN: 1
; COMPUTE_PGM_RSRC2:TGID_Y_EN: 0
; COMPUTE_PGM_RSRC2:TGID_Z_EN: 0
; COMPUTE_PGM_RSRC2:TIDIG_COMP_CNT: 0
	.section	.text._Z33tail_segmented_warp_reduce_kernelIihLj64ELj16EENSt9enable_ifIXsr10test_utilsE35device_test_enabled_for_warp_size_vIXT2_EEEvE4typeEPT_PT0_S4_,"axG",@progbits,_Z33tail_segmented_warp_reduce_kernelIihLj64ELj16EENSt9enable_ifIXsr10test_utilsE35device_test_enabled_for_warp_size_vIXT2_EEEvE4typeEPT_PT0_S4_,comdat
	.protected	_Z33tail_segmented_warp_reduce_kernelIihLj64ELj16EENSt9enable_ifIXsr10test_utilsE35device_test_enabled_for_warp_size_vIXT2_EEEvE4typeEPT_PT0_S4_ ; -- Begin function _Z33tail_segmented_warp_reduce_kernelIihLj64ELj16EENSt9enable_ifIXsr10test_utilsE35device_test_enabled_for_warp_size_vIXT2_EEEvE4typeEPT_PT0_S4_
	.globl	_Z33tail_segmented_warp_reduce_kernelIihLj64ELj16EENSt9enable_ifIXsr10test_utilsE35device_test_enabled_for_warp_size_vIXT2_EEEvE4typeEPT_PT0_S4_
	.p2align	8
	.type	_Z33tail_segmented_warp_reduce_kernelIihLj64ELj16EENSt9enable_ifIXsr10test_utilsE35device_test_enabled_for_warp_size_vIXT2_EEEvE4typeEPT_PT0_S4_,@function
_Z33tail_segmented_warp_reduce_kernelIihLj64ELj16EENSt9enable_ifIXsr10test_utilsE35device_test_enabled_for_warp_size_vIXT2_EEEvE4typeEPT_PT0_S4_: ; @_Z33tail_segmented_warp_reduce_kernelIihLj64ELj16EENSt9enable_ifIXsr10test_utilsE35device_test_enabled_for_warp_size_vIXT2_EEEvE4typeEPT_PT0_S4_
; %bb.0:
	s_clause 0x2
	s_load_b32 s2, s[0:1], 0x24
	s_load_b128 s[4:7], s[0:1], 0x0
	s_load_b64 s[0:1], s[0:1], 0x10
	s_waitcnt lgkmcnt(0)
	s_and_b32 s2, s2, 0xffff
	s_delay_alu instid0(SALU_CYCLE_1) | instskip(SKIP_1) | instid1(VALU_DEP_1)
	v_mad_u64_u32 v[1:2], null, s15, s2, v[0:1]
	v_mov_b32_e32 v2, 0
	v_lshlrev_b64 v[2:3], 2, v[1:2]
	global_load_u8 v4, v1, s[6:7]
	v_add_co_u32 v0, vcc_lo, s4, v2
	v_add_co_ci_u32_e32 v1, vcc_lo, s5, v3, vcc_lo
	global_load_b32 v0, v[0:1], off
	v_mbcnt_lo_u32_b32 v1, -1, 0
	s_delay_alu instid0(VALU_DEP_1) | instskip(SKIP_1) | instid1(VALU_DEP_2)
	v_and_b32_e32 v5, 15, v1
	v_lshlrev_b32_e64 v7, v1, -1
	v_cmp_ne_u32_e32 vcc_lo, 15, v5
	v_add_nc_u32_e32 v8, 2, v5
	v_add_co_ci_u32_e32 v6, vcc_lo, 0, v1, vcc_lo
	s_waitcnt vmcnt(1)
	v_cmp_ne_u16_e32 vcc_lo, 0, v4
	s_delay_alu instid0(VALU_DEP_2)
	v_lshlrev_b32_e32 v4, 2, v6
	v_and_b32_e32 v6, 16, v1
	s_waitcnt vmcnt(0)
	ds_bpermute_b32 v4, v4, v0
	v_and_b32_e32 v7, vcc_lo, v7
	v_cmp_gt_u32_e32 vcc_lo, 14, v5
	s_delay_alu instid0(VALU_DEP_2) | instskip(SKIP_1) | instid1(VALU_DEP_2)
	v_lshrrev_b32_e32 v6, v6, v7
	v_cndmask_b32_e64 v7, 0, 1, vcc_lo
	v_or_b32_e32 v6, 0x8000, v6
	s_delay_alu instid0(VALU_DEP_2) | instskip(NEXT) | instid1(VALU_DEP_2)
	v_lshlrev_b32_e32 v7, 1, v7
	v_ctz_i32_b32_e32 v6, v6
	s_delay_alu instid0(VALU_DEP_2) | instskip(NEXT) | instid1(VALU_DEP_2)
	v_add_lshl_u32 v7, v7, v1, 2
	v_cmp_lt_u32_e32 vcc_lo, v5, v6
	s_waitcnt lgkmcnt(0)
	v_cndmask_b32_e32 v4, 0, v4, vcc_lo
	v_cmp_gt_u32_e32 vcc_lo, 12, v5
	s_delay_alu instid0(VALU_DEP_2) | instskip(SKIP_4) | instid1(VALU_DEP_3)
	v_add_nc_u32_e32 v0, v4, v0
	ds_bpermute_b32 v4, v7, v0
	v_cndmask_b32_e64 v7, 0, 1, vcc_lo
	v_cmp_le_u32_e32 vcc_lo, v8, v6
	v_add_nc_u32_e32 v8, 4, v5
	v_lshlrev_b32_e32 v7, 2, v7
	s_delay_alu instid0(VALU_DEP_1) | instskip(SKIP_3) | instid1(VALU_DEP_2)
	v_add_lshl_u32 v7, v7, v1, 2
	s_waitcnt lgkmcnt(0)
	v_cndmask_b32_e32 v4, 0, v4, vcc_lo
	v_cmp_gt_u32_e32 vcc_lo, 8, v5
	v_add_nc_u32_e32 v0, v0, v4
	ds_bpermute_b32 v4, v7, v0
	v_cndmask_b32_e64 v7, 0, 1, vcc_lo
	v_cmp_le_u32_e32 vcc_lo, v8, v6
	s_delay_alu instid0(VALU_DEP_2) | instskip(NEXT) | instid1(VALU_DEP_1)
	v_lshlrev_b32_e32 v7, 3, v7
	v_add_lshl_u32 v1, v7, v1, 2
	s_waitcnt lgkmcnt(0)
	v_cndmask_b32_e32 v4, 0, v4, vcc_lo
	s_delay_alu instid0(VALU_DEP_1)
	v_add_nc_u32_e32 v0, v0, v4
	v_add_nc_u32_e32 v4, 8, v5
	ds_bpermute_b32 v1, v1, v0
	v_cmp_le_u32_e32 vcc_lo, v4, v6
	s_waitcnt lgkmcnt(0)
	v_cndmask_b32_e32 v1, 0, v1, vcc_lo
	s_delay_alu instid0(VALU_DEP_1)
	v_add_nc_u32_e32 v4, v0, v1
	v_add_co_u32 v0, vcc_lo, s0, v2
	v_add_co_ci_u32_e32 v1, vcc_lo, s1, v3, vcc_lo
	global_store_b32 v[0:1], v4, off
	s_nop 0
	s_sendmsg sendmsg(MSG_DEALLOC_VGPRS)
	s_endpgm
	.section	.rodata,"a",@progbits
	.p2align	6, 0x0
	.amdhsa_kernel _Z33tail_segmented_warp_reduce_kernelIihLj64ELj16EENSt9enable_ifIXsr10test_utilsE35device_test_enabled_for_warp_size_vIXT2_EEEvE4typeEPT_PT0_S4_
		.amdhsa_group_segment_fixed_size 0
		.amdhsa_private_segment_fixed_size 0
		.amdhsa_kernarg_size 280
		.amdhsa_user_sgpr_count 15
		.amdhsa_user_sgpr_dispatch_ptr 0
		.amdhsa_user_sgpr_queue_ptr 0
		.amdhsa_user_sgpr_kernarg_segment_ptr 1
		.amdhsa_user_sgpr_dispatch_id 0
		.amdhsa_user_sgpr_private_segment_size 0
		.amdhsa_wavefront_size32 1
		.amdhsa_uses_dynamic_stack 0
		.amdhsa_enable_private_segment 0
		.amdhsa_system_sgpr_workgroup_id_x 1
		.amdhsa_system_sgpr_workgroup_id_y 0
		.amdhsa_system_sgpr_workgroup_id_z 0
		.amdhsa_system_sgpr_workgroup_info 0
		.amdhsa_system_vgpr_workitem_id 0
		.amdhsa_next_free_vgpr 9
		.amdhsa_next_free_sgpr 16
		.amdhsa_reserve_vcc 1
		.amdhsa_float_round_mode_32 0
		.amdhsa_float_round_mode_16_64 0
		.amdhsa_float_denorm_mode_32 3
		.amdhsa_float_denorm_mode_16_64 3
		.amdhsa_dx10_clamp 1
		.amdhsa_ieee_mode 1
		.amdhsa_fp16_overflow 0
		.amdhsa_workgroup_processor_mode 1
		.amdhsa_memory_ordered 1
		.amdhsa_forward_progress 0
		.amdhsa_shared_vgpr_count 0
		.amdhsa_exception_fp_ieee_invalid_op 0
		.amdhsa_exception_fp_denorm_src 0
		.amdhsa_exception_fp_ieee_div_zero 0
		.amdhsa_exception_fp_ieee_overflow 0
		.amdhsa_exception_fp_ieee_underflow 0
		.amdhsa_exception_fp_ieee_inexact 0
		.amdhsa_exception_int_div_zero 0
	.end_amdhsa_kernel
	.section	.text._Z33tail_segmented_warp_reduce_kernelIihLj64ELj16EENSt9enable_ifIXsr10test_utilsE35device_test_enabled_for_warp_size_vIXT2_EEEvE4typeEPT_PT0_S4_,"axG",@progbits,_Z33tail_segmented_warp_reduce_kernelIihLj64ELj16EENSt9enable_ifIXsr10test_utilsE35device_test_enabled_for_warp_size_vIXT2_EEEvE4typeEPT_PT0_S4_,comdat
.Lfunc_end247:
	.size	_Z33tail_segmented_warp_reduce_kernelIihLj64ELj16EENSt9enable_ifIXsr10test_utilsE35device_test_enabled_for_warp_size_vIXT2_EEEvE4typeEPT_PT0_S4_, .Lfunc_end247-_Z33tail_segmented_warp_reduce_kernelIihLj64ELj16EENSt9enable_ifIXsr10test_utilsE35device_test_enabled_for_warp_size_vIXT2_EEEvE4typeEPT_PT0_S4_
                                        ; -- End function
	.section	.AMDGPU.csdata,"",@progbits
; Kernel info:
; codeLenInByte = 412
; NumSgprs: 18
; NumVgprs: 9
; ScratchSize: 0
; MemoryBound: 0
; FloatMode: 240
; IeeeMode: 1
; LDSByteSize: 0 bytes/workgroup (compile time only)
; SGPRBlocks: 2
; VGPRBlocks: 1
; NumSGPRsForWavesPerEU: 18
; NumVGPRsForWavesPerEU: 9
; Occupancy: 16
; WaveLimiterHint : 0
; COMPUTE_PGM_RSRC2:SCRATCH_EN: 0
; COMPUTE_PGM_RSRC2:USER_SGPR: 15
; COMPUTE_PGM_RSRC2:TRAP_HANDLER: 0
; COMPUTE_PGM_RSRC2:TGID_X_EN: 1
; COMPUTE_PGM_RSRC2:TGID_Y_EN: 0
; COMPUTE_PGM_RSRC2:TGID_Z_EN: 0
; COMPUTE_PGM_RSRC2:TIDIG_COMP_CNT: 0
	.section	.text._Z33tail_segmented_warp_reduce_kernelIihLj32ELj8EENSt9enable_ifIXsr10test_utilsE35device_test_enabled_for_warp_size_vIXT2_EEEvE4typeEPT_PT0_S4_,"axG",@progbits,_Z33tail_segmented_warp_reduce_kernelIihLj32ELj8EENSt9enable_ifIXsr10test_utilsE35device_test_enabled_for_warp_size_vIXT2_EEEvE4typeEPT_PT0_S4_,comdat
	.protected	_Z33tail_segmented_warp_reduce_kernelIihLj32ELj8EENSt9enable_ifIXsr10test_utilsE35device_test_enabled_for_warp_size_vIXT2_EEEvE4typeEPT_PT0_S4_ ; -- Begin function _Z33tail_segmented_warp_reduce_kernelIihLj32ELj8EENSt9enable_ifIXsr10test_utilsE35device_test_enabled_for_warp_size_vIXT2_EEEvE4typeEPT_PT0_S4_
	.globl	_Z33tail_segmented_warp_reduce_kernelIihLj32ELj8EENSt9enable_ifIXsr10test_utilsE35device_test_enabled_for_warp_size_vIXT2_EEEvE4typeEPT_PT0_S4_
	.p2align	8
	.type	_Z33tail_segmented_warp_reduce_kernelIihLj32ELj8EENSt9enable_ifIXsr10test_utilsE35device_test_enabled_for_warp_size_vIXT2_EEEvE4typeEPT_PT0_S4_,@function
_Z33tail_segmented_warp_reduce_kernelIihLj32ELj8EENSt9enable_ifIXsr10test_utilsE35device_test_enabled_for_warp_size_vIXT2_EEEvE4typeEPT_PT0_S4_: ; @_Z33tail_segmented_warp_reduce_kernelIihLj32ELj8EENSt9enable_ifIXsr10test_utilsE35device_test_enabled_for_warp_size_vIXT2_EEEvE4typeEPT_PT0_S4_
; %bb.0:
	s_clause 0x2
	s_load_b32 s2, s[0:1], 0x24
	s_load_b128 s[4:7], s[0:1], 0x0
	s_load_b64 s[0:1], s[0:1], 0x10
	s_waitcnt lgkmcnt(0)
	s_and_b32 s2, s2, 0xffff
	s_delay_alu instid0(SALU_CYCLE_1) | instskip(SKIP_1) | instid1(VALU_DEP_1)
	v_mad_u64_u32 v[1:2], null, s15, s2, v[0:1]
	v_mov_b32_e32 v2, 0
	v_lshlrev_b64 v[2:3], 2, v[1:2]
	global_load_u8 v4, v1, s[6:7]
	v_add_co_u32 v0, vcc_lo, s4, v2
	v_add_co_ci_u32_e32 v1, vcc_lo, s5, v3, vcc_lo
	global_load_b32 v0, v[0:1], off
	v_mbcnt_lo_u32_b32 v1, -1, 0
	s_delay_alu instid0(VALU_DEP_1) | instskip(SKIP_1) | instid1(VALU_DEP_2)
	v_and_b32_e32 v5, 7, v1
	v_lshlrev_b32_e64 v7, v1, -1
	v_cmp_ne_u32_e32 vcc_lo, 7, v5
	v_add_nc_u32_e32 v8, 2, v5
	v_add_co_ci_u32_e32 v6, vcc_lo, 0, v1, vcc_lo
	s_waitcnt vmcnt(1)
	v_cmp_ne_u16_e32 vcc_lo, 0, v4
	s_delay_alu instid0(VALU_DEP_2)
	v_lshlrev_b32_e32 v4, 2, v6
	v_and_b32_e32 v6, 24, v1
	s_waitcnt vmcnt(0)
	ds_bpermute_b32 v4, v4, v0
	v_and_b32_e32 v7, vcc_lo, v7
	v_cmp_gt_u32_e32 vcc_lo, 6, v5
	s_delay_alu instid0(VALU_DEP_2) | instskip(SKIP_1) | instid1(VALU_DEP_2)
	v_lshrrev_b32_e32 v6, v6, v7
	v_cndmask_b32_e64 v7, 0, 1, vcc_lo
	v_or_b32_e32 v6, 0x80, v6
	s_delay_alu instid0(VALU_DEP_2) | instskip(NEXT) | instid1(VALU_DEP_2)
	v_lshlrev_b32_e32 v7, 1, v7
	v_ctz_i32_b32_e32 v6, v6
	s_delay_alu instid0(VALU_DEP_2) | instskip(NEXT) | instid1(VALU_DEP_2)
	v_add_lshl_u32 v7, v7, v1, 2
	v_cmp_lt_u32_e32 vcc_lo, v5, v6
	s_waitcnt lgkmcnt(0)
	v_cndmask_b32_e32 v4, 0, v4, vcc_lo
	v_cmp_gt_u32_e32 vcc_lo, 4, v5
	s_delay_alu instid0(VALU_DEP_2) | instskip(SKIP_3) | instid1(VALU_DEP_2)
	v_add_nc_u32_e32 v0, v4, v0
	ds_bpermute_b32 v4, v7, v0
	v_cndmask_b32_e64 v7, 0, 1, vcc_lo
	v_cmp_le_u32_e32 vcc_lo, v8, v6
	v_lshlrev_b32_e32 v7, 2, v7
	s_delay_alu instid0(VALU_DEP_1) | instskip(SKIP_2) | instid1(VALU_DEP_1)
	v_add_lshl_u32 v1, v7, v1, 2
	s_waitcnt lgkmcnt(0)
	v_cndmask_b32_e32 v4, 0, v4, vcc_lo
	v_add_nc_u32_e32 v0, v0, v4
	v_add_nc_u32_e32 v4, 4, v5
	ds_bpermute_b32 v1, v1, v0
	v_cmp_le_u32_e32 vcc_lo, v4, v6
	s_waitcnt lgkmcnt(0)
	v_cndmask_b32_e32 v1, 0, v1, vcc_lo
	s_delay_alu instid0(VALU_DEP_1)
	v_add_nc_u32_e32 v4, v0, v1
	v_add_co_u32 v0, vcc_lo, s0, v2
	v_add_co_ci_u32_e32 v1, vcc_lo, s1, v3, vcc_lo
	global_store_b32 v[0:1], v4, off
	s_nop 0
	s_sendmsg sendmsg(MSG_DEALLOC_VGPRS)
	s_endpgm
	.section	.rodata,"a",@progbits
	.p2align	6, 0x0
	.amdhsa_kernel _Z33tail_segmented_warp_reduce_kernelIihLj32ELj8EENSt9enable_ifIXsr10test_utilsE35device_test_enabled_for_warp_size_vIXT2_EEEvE4typeEPT_PT0_S4_
		.amdhsa_group_segment_fixed_size 0
		.amdhsa_private_segment_fixed_size 0
		.amdhsa_kernarg_size 280
		.amdhsa_user_sgpr_count 15
		.amdhsa_user_sgpr_dispatch_ptr 0
		.amdhsa_user_sgpr_queue_ptr 0
		.amdhsa_user_sgpr_kernarg_segment_ptr 1
		.amdhsa_user_sgpr_dispatch_id 0
		.amdhsa_user_sgpr_private_segment_size 0
		.amdhsa_wavefront_size32 1
		.amdhsa_uses_dynamic_stack 0
		.amdhsa_enable_private_segment 0
		.amdhsa_system_sgpr_workgroup_id_x 1
		.amdhsa_system_sgpr_workgroup_id_y 0
		.amdhsa_system_sgpr_workgroup_id_z 0
		.amdhsa_system_sgpr_workgroup_info 0
		.amdhsa_system_vgpr_workitem_id 0
		.amdhsa_next_free_vgpr 9
		.amdhsa_next_free_sgpr 16
		.amdhsa_reserve_vcc 1
		.amdhsa_float_round_mode_32 0
		.amdhsa_float_round_mode_16_64 0
		.amdhsa_float_denorm_mode_32 3
		.amdhsa_float_denorm_mode_16_64 3
		.amdhsa_dx10_clamp 1
		.amdhsa_ieee_mode 1
		.amdhsa_fp16_overflow 0
		.amdhsa_workgroup_processor_mode 1
		.amdhsa_memory_ordered 1
		.amdhsa_forward_progress 0
		.amdhsa_shared_vgpr_count 0
		.amdhsa_exception_fp_ieee_invalid_op 0
		.amdhsa_exception_fp_denorm_src 0
		.amdhsa_exception_fp_ieee_div_zero 0
		.amdhsa_exception_fp_ieee_overflow 0
		.amdhsa_exception_fp_ieee_underflow 0
		.amdhsa_exception_fp_ieee_inexact 0
		.amdhsa_exception_int_div_zero 0
	.end_amdhsa_kernel
	.section	.text._Z33tail_segmented_warp_reduce_kernelIihLj32ELj8EENSt9enable_ifIXsr10test_utilsE35device_test_enabled_for_warp_size_vIXT2_EEEvE4typeEPT_PT0_S4_,"axG",@progbits,_Z33tail_segmented_warp_reduce_kernelIihLj32ELj8EENSt9enable_ifIXsr10test_utilsE35device_test_enabled_for_warp_size_vIXT2_EEEvE4typeEPT_PT0_S4_,comdat
.Lfunc_end248:
	.size	_Z33tail_segmented_warp_reduce_kernelIihLj32ELj8EENSt9enable_ifIXsr10test_utilsE35device_test_enabled_for_warp_size_vIXT2_EEEvE4typeEPT_PT0_S4_, .Lfunc_end248-_Z33tail_segmented_warp_reduce_kernelIihLj32ELj8EENSt9enable_ifIXsr10test_utilsE35device_test_enabled_for_warp_size_vIXT2_EEEvE4typeEPT_PT0_S4_
                                        ; -- End function
	.section	.AMDGPU.csdata,"",@progbits
; Kernel info:
; codeLenInByte = 352
; NumSgprs: 18
; NumVgprs: 9
; ScratchSize: 0
; MemoryBound: 0
; FloatMode: 240
; IeeeMode: 1
; LDSByteSize: 0 bytes/workgroup (compile time only)
; SGPRBlocks: 2
; VGPRBlocks: 1
; NumSGPRsForWavesPerEU: 18
; NumVGPRsForWavesPerEU: 9
; Occupancy: 16
; WaveLimiterHint : 0
; COMPUTE_PGM_RSRC2:SCRATCH_EN: 0
; COMPUTE_PGM_RSRC2:USER_SGPR: 15
; COMPUTE_PGM_RSRC2:TRAP_HANDLER: 0
; COMPUTE_PGM_RSRC2:TGID_X_EN: 1
; COMPUTE_PGM_RSRC2:TGID_Y_EN: 0
; COMPUTE_PGM_RSRC2:TGID_Z_EN: 0
; COMPUTE_PGM_RSRC2:TIDIG_COMP_CNT: 0
	.section	.text._Z33tail_segmented_warp_reduce_kernelIihLj64ELj8EENSt9enable_ifIXsr10test_utilsE35device_test_enabled_for_warp_size_vIXT2_EEEvE4typeEPT_PT0_S4_,"axG",@progbits,_Z33tail_segmented_warp_reduce_kernelIihLj64ELj8EENSt9enable_ifIXsr10test_utilsE35device_test_enabled_for_warp_size_vIXT2_EEEvE4typeEPT_PT0_S4_,comdat
	.protected	_Z33tail_segmented_warp_reduce_kernelIihLj64ELj8EENSt9enable_ifIXsr10test_utilsE35device_test_enabled_for_warp_size_vIXT2_EEEvE4typeEPT_PT0_S4_ ; -- Begin function _Z33tail_segmented_warp_reduce_kernelIihLj64ELj8EENSt9enable_ifIXsr10test_utilsE35device_test_enabled_for_warp_size_vIXT2_EEEvE4typeEPT_PT0_S4_
	.globl	_Z33tail_segmented_warp_reduce_kernelIihLj64ELj8EENSt9enable_ifIXsr10test_utilsE35device_test_enabled_for_warp_size_vIXT2_EEEvE4typeEPT_PT0_S4_
	.p2align	8
	.type	_Z33tail_segmented_warp_reduce_kernelIihLj64ELj8EENSt9enable_ifIXsr10test_utilsE35device_test_enabled_for_warp_size_vIXT2_EEEvE4typeEPT_PT0_S4_,@function
_Z33tail_segmented_warp_reduce_kernelIihLj64ELj8EENSt9enable_ifIXsr10test_utilsE35device_test_enabled_for_warp_size_vIXT2_EEEvE4typeEPT_PT0_S4_: ; @_Z33tail_segmented_warp_reduce_kernelIihLj64ELj8EENSt9enable_ifIXsr10test_utilsE35device_test_enabled_for_warp_size_vIXT2_EEEvE4typeEPT_PT0_S4_
; %bb.0:
	s_clause 0x2
	s_load_b32 s2, s[0:1], 0x24
	s_load_b128 s[4:7], s[0:1], 0x0
	s_load_b64 s[0:1], s[0:1], 0x10
	s_waitcnt lgkmcnt(0)
	s_and_b32 s2, s2, 0xffff
	s_delay_alu instid0(SALU_CYCLE_1) | instskip(SKIP_1) | instid1(VALU_DEP_1)
	v_mad_u64_u32 v[1:2], null, s15, s2, v[0:1]
	v_mov_b32_e32 v2, 0
	v_lshlrev_b64 v[2:3], 2, v[1:2]
	global_load_u8 v4, v1, s[6:7]
	v_add_co_u32 v0, vcc_lo, s4, v2
	v_add_co_ci_u32_e32 v1, vcc_lo, s5, v3, vcc_lo
	global_load_b32 v0, v[0:1], off
	v_mbcnt_lo_u32_b32 v1, -1, 0
	s_delay_alu instid0(VALU_DEP_1) | instskip(SKIP_1) | instid1(VALU_DEP_2)
	v_and_b32_e32 v5, 7, v1
	v_lshlrev_b32_e64 v7, v1, -1
	v_cmp_ne_u32_e32 vcc_lo, 7, v5
	v_add_nc_u32_e32 v8, 2, v5
	v_add_co_ci_u32_e32 v6, vcc_lo, 0, v1, vcc_lo
	s_waitcnt vmcnt(1)
	v_cmp_ne_u16_e32 vcc_lo, 0, v4
	s_delay_alu instid0(VALU_DEP_2)
	v_lshlrev_b32_e32 v4, 2, v6
	v_and_b32_e32 v6, 24, v1
	s_waitcnt vmcnt(0)
	ds_bpermute_b32 v4, v4, v0
	v_and_b32_e32 v7, vcc_lo, v7
	v_cmp_gt_u32_e32 vcc_lo, 6, v5
	s_delay_alu instid0(VALU_DEP_2) | instskip(SKIP_1) | instid1(VALU_DEP_2)
	v_lshrrev_b32_e32 v6, v6, v7
	v_cndmask_b32_e64 v7, 0, 1, vcc_lo
	v_or_b32_e32 v6, 0x80, v6
	s_delay_alu instid0(VALU_DEP_2) | instskip(NEXT) | instid1(VALU_DEP_2)
	v_lshlrev_b32_e32 v7, 1, v7
	v_ctz_i32_b32_e32 v6, v6
	s_delay_alu instid0(VALU_DEP_2) | instskip(NEXT) | instid1(VALU_DEP_2)
	v_add_lshl_u32 v7, v7, v1, 2
	v_cmp_lt_u32_e32 vcc_lo, v5, v6
	s_waitcnt lgkmcnt(0)
	v_cndmask_b32_e32 v4, 0, v4, vcc_lo
	v_cmp_gt_u32_e32 vcc_lo, 4, v5
	s_delay_alu instid0(VALU_DEP_2) | instskip(SKIP_3) | instid1(VALU_DEP_2)
	v_add_nc_u32_e32 v0, v4, v0
	ds_bpermute_b32 v4, v7, v0
	v_cndmask_b32_e64 v7, 0, 1, vcc_lo
	v_cmp_le_u32_e32 vcc_lo, v8, v6
	v_lshlrev_b32_e32 v7, 2, v7
	s_delay_alu instid0(VALU_DEP_1) | instskip(SKIP_2) | instid1(VALU_DEP_1)
	v_add_lshl_u32 v1, v7, v1, 2
	s_waitcnt lgkmcnt(0)
	v_cndmask_b32_e32 v4, 0, v4, vcc_lo
	v_add_nc_u32_e32 v0, v0, v4
	v_add_nc_u32_e32 v4, 4, v5
	ds_bpermute_b32 v1, v1, v0
	v_cmp_le_u32_e32 vcc_lo, v4, v6
	s_waitcnt lgkmcnt(0)
	v_cndmask_b32_e32 v1, 0, v1, vcc_lo
	s_delay_alu instid0(VALU_DEP_1)
	v_add_nc_u32_e32 v4, v0, v1
	v_add_co_u32 v0, vcc_lo, s0, v2
	v_add_co_ci_u32_e32 v1, vcc_lo, s1, v3, vcc_lo
	global_store_b32 v[0:1], v4, off
	s_nop 0
	s_sendmsg sendmsg(MSG_DEALLOC_VGPRS)
	s_endpgm
	.section	.rodata,"a",@progbits
	.p2align	6, 0x0
	.amdhsa_kernel _Z33tail_segmented_warp_reduce_kernelIihLj64ELj8EENSt9enable_ifIXsr10test_utilsE35device_test_enabled_for_warp_size_vIXT2_EEEvE4typeEPT_PT0_S4_
		.amdhsa_group_segment_fixed_size 0
		.amdhsa_private_segment_fixed_size 0
		.amdhsa_kernarg_size 280
		.amdhsa_user_sgpr_count 15
		.amdhsa_user_sgpr_dispatch_ptr 0
		.amdhsa_user_sgpr_queue_ptr 0
		.amdhsa_user_sgpr_kernarg_segment_ptr 1
		.amdhsa_user_sgpr_dispatch_id 0
		.amdhsa_user_sgpr_private_segment_size 0
		.amdhsa_wavefront_size32 1
		.amdhsa_uses_dynamic_stack 0
		.amdhsa_enable_private_segment 0
		.amdhsa_system_sgpr_workgroup_id_x 1
		.amdhsa_system_sgpr_workgroup_id_y 0
		.amdhsa_system_sgpr_workgroup_id_z 0
		.amdhsa_system_sgpr_workgroup_info 0
		.amdhsa_system_vgpr_workitem_id 0
		.amdhsa_next_free_vgpr 9
		.amdhsa_next_free_sgpr 16
		.amdhsa_reserve_vcc 1
		.amdhsa_float_round_mode_32 0
		.amdhsa_float_round_mode_16_64 0
		.amdhsa_float_denorm_mode_32 3
		.amdhsa_float_denorm_mode_16_64 3
		.amdhsa_dx10_clamp 1
		.amdhsa_ieee_mode 1
		.amdhsa_fp16_overflow 0
		.amdhsa_workgroup_processor_mode 1
		.amdhsa_memory_ordered 1
		.amdhsa_forward_progress 0
		.amdhsa_shared_vgpr_count 0
		.amdhsa_exception_fp_ieee_invalid_op 0
		.amdhsa_exception_fp_denorm_src 0
		.amdhsa_exception_fp_ieee_div_zero 0
		.amdhsa_exception_fp_ieee_overflow 0
		.amdhsa_exception_fp_ieee_underflow 0
		.amdhsa_exception_fp_ieee_inexact 0
		.amdhsa_exception_int_div_zero 0
	.end_amdhsa_kernel
	.section	.text._Z33tail_segmented_warp_reduce_kernelIihLj64ELj8EENSt9enable_ifIXsr10test_utilsE35device_test_enabled_for_warp_size_vIXT2_EEEvE4typeEPT_PT0_S4_,"axG",@progbits,_Z33tail_segmented_warp_reduce_kernelIihLj64ELj8EENSt9enable_ifIXsr10test_utilsE35device_test_enabled_for_warp_size_vIXT2_EEEvE4typeEPT_PT0_S4_,comdat
.Lfunc_end249:
	.size	_Z33tail_segmented_warp_reduce_kernelIihLj64ELj8EENSt9enable_ifIXsr10test_utilsE35device_test_enabled_for_warp_size_vIXT2_EEEvE4typeEPT_PT0_S4_, .Lfunc_end249-_Z33tail_segmented_warp_reduce_kernelIihLj64ELj8EENSt9enable_ifIXsr10test_utilsE35device_test_enabled_for_warp_size_vIXT2_EEEvE4typeEPT_PT0_S4_
                                        ; -- End function
	.section	.AMDGPU.csdata,"",@progbits
; Kernel info:
; codeLenInByte = 352
; NumSgprs: 18
; NumVgprs: 9
; ScratchSize: 0
; MemoryBound: 0
; FloatMode: 240
; IeeeMode: 1
; LDSByteSize: 0 bytes/workgroup (compile time only)
; SGPRBlocks: 2
; VGPRBlocks: 1
; NumSGPRsForWavesPerEU: 18
; NumVGPRsForWavesPerEU: 9
; Occupancy: 16
; WaveLimiterHint : 0
; COMPUTE_PGM_RSRC2:SCRATCH_EN: 0
; COMPUTE_PGM_RSRC2:USER_SGPR: 15
; COMPUTE_PGM_RSRC2:TRAP_HANDLER: 0
; COMPUTE_PGM_RSRC2:TGID_X_EN: 1
; COMPUTE_PGM_RSRC2:TGID_Y_EN: 0
; COMPUTE_PGM_RSRC2:TGID_Z_EN: 0
; COMPUTE_PGM_RSRC2:TIDIG_COMP_CNT: 0
	.section	.text._Z33tail_segmented_warp_reduce_kernelIihLj32ELj4EENSt9enable_ifIXsr10test_utilsE35device_test_enabled_for_warp_size_vIXT2_EEEvE4typeEPT_PT0_S4_,"axG",@progbits,_Z33tail_segmented_warp_reduce_kernelIihLj32ELj4EENSt9enable_ifIXsr10test_utilsE35device_test_enabled_for_warp_size_vIXT2_EEEvE4typeEPT_PT0_S4_,comdat
	.protected	_Z33tail_segmented_warp_reduce_kernelIihLj32ELj4EENSt9enable_ifIXsr10test_utilsE35device_test_enabled_for_warp_size_vIXT2_EEEvE4typeEPT_PT0_S4_ ; -- Begin function _Z33tail_segmented_warp_reduce_kernelIihLj32ELj4EENSt9enable_ifIXsr10test_utilsE35device_test_enabled_for_warp_size_vIXT2_EEEvE4typeEPT_PT0_S4_
	.globl	_Z33tail_segmented_warp_reduce_kernelIihLj32ELj4EENSt9enable_ifIXsr10test_utilsE35device_test_enabled_for_warp_size_vIXT2_EEEvE4typeEPT_PT0_S4_
	.p2align	8
	.type	_Z33tail_segmented_warp_reduce_kernelIihLj32ELj4EENSt9enable_ifIXsr10test_utilsE35device_test_enabled_for_warp_size_vIXT2_EEEvE4typeEPT_PT0_S4_,@function
_Z33tail_segmented_warp_reduce_kernelIihLj32ELj4EENSt9enable_ifIXsr10test_utilsE35device_test_enabled_for_warp_size_vIXT2_EEEvE4typeEPT_PT0_S4_: ; @_Z33tail_segmented_warp_reduce_kernelIihLj32ELj4EENSt9enable_ifIXsr10test_utilsE35device_test_enabled_for_warp_size_vIXT2_EEEvE4typeEPT_PT0_S4_
; %bb.0:
	s_clause 0x2
	s_load_b32 s2, s[0:1], 0x24
	s_load_b128 s[4:7], s[0:1], 0x0
	s_load_b64 s[0:1], s[0:1], 0x10
	s_waitcnt lgkmcnt(0)
	s_and_b32 s2, s2, 0xffff
	s_delay_alu instid0(SALU_CYCLE_1) | instskip(SKIP_1) | instid1(VALU_DEP_1)
	v_mad_u64_u32 v[1:2], null, s15, s2, v[0:1]
	v_mov_b32_e32 v2, 0
	v_lshlrev_b64 v[2:3], 2, v[1:2]
	global_load_u8 v4, v1, s[6:7]
	v_add_co_u32 v0, vcc_lo, s4, v2
	v_add_co_ci_u32_e32 v1, vcc_lo, s5, v3, vcc_lo
	global_load_b32 v0, v[0:1], off
	v_mbcnt_lo_u32_b32 v1, -1, 0
	s_delay_alu instid0(VALU_DEP_1) | instskip(SKIP_1) | instid1(VALU_DEP_2)
	v_and_b32_e32 v5, 3, v1
	v_lshlrev_b32_e64 v7, v1, -1
	v_cmp_ne_u32_e32 vcc_lo, 3, v5
	v_add_co_ci_u32_e32 v6, vcc_lo, 0, v1, vcc_lo
	s_waitcnt vmcnt(1)
	v_cmp_ne_u16_e32 vcc_lo, 0, v4
	s_delay_alu instid0(VALU_DEP_2)
	v_lshlrev_b32_e32 v4, 2, v6
	v_and_b32_e32 v6, 28, v1
	s_waitcnt vmcnt(0)
	ds_bpermute_b32 v4, v4, v0
	v_and_b32_e32 v7, vcc_lo, v7
	v_cmp_gt_u32_e32 vcc_lo, 2, v5
	s_delay_alu instid0(VALU_DEP_2) | instskip(SKIP_1) | instid1(VALU_DEP_2)
	v_lshrrev_b32_e32 v6, v6, v7
	v_cndmask_b32_e64 v7, 0, 1, vcc_lo
	v_or_b32_e32 v6, 8, v6
	s_delay_alu instid0(VALU_DEP_2) | instskip(NEXT) | instid1(VALU_DEP_2)
	v_lshlrev_b32_e32 v7, 1, v7
	v_ctz_i32_b32_e32 v6, v6
	s_delay_alu instid0(VALU_DEP_2) | instskip(NEXT) | instid1(VALU_DEP_2)
	v_add_lshl_u32 v1, v7, v1, 2
	v_cmp_lt_u32_e32 vcc_lo, v5, v6
	s_waitcnt lgkmcnt(0)
	v_cndmask_b32_e32 v4, 0, v4, vcc_lo
	s_delay_alu instid0(VALU_DEP_1)
	v_add_nc_u32_e32 v0, v4, v0
	v_add_nc_u32_e32 v4, 2, v5
	ds_bpermute_b32 v1, v1, v0
	v_cmp_le_u32_e32 vcc_lo, v4, v6
	s_waitcnt lgkmcnt(0)
	v_cndmask_b32_e32 v1, 0, v1, vcc_lo
	s_delay_alu instid0(VALU_DEP_1)
	v_add_nc_u32_e32 v4, v0, v1
	v_add_co_u32 v0, vcc_lo, s0, v2
	v_add_co_ci_u32_e32 v1, vcc_lo, s1, v3, vcc_lo
	global_store_b32 v[0:1], v4, off
	s_nop 0
	s_sendmsg sendmsg(MSG_DEALLOC_VGPRS)
	s_endpgm
	.section	.rodata,"a",@progbits
	.p2align	6, 0x0
	.amdhsa_kernel _Z33tail_segmented_warp_reduce_kernelIihLj32ELj4EENSt9enable_ifIXsr10test_utilsE35device_test_enabled_for_warp_size_vIXT2_EEEvE4typeEPT_PT0_S4_
		.amdhsa_group_segment_fixed_size 0
		.amdhsa_private_segment_fixed_size 0
		.amdhsa_kernarg_size 280
		.amdhsa_user_sgpr_count 15
		.amdhsa_user_sgpr_dispatch_ptr 0
		.amdhsa_user_sgpr_queue_ptr 0
		.amdhsa_user_sgpr_kernarg_segment_ptr 1
		.amdhsa_user_sgpr_dispatch_id 0
		.amdhsa_user_sgpr_private_segment_size 0
		.amdhsa_wavefront_size32 1
		.amdhsa_uses_dynamic_stack 0
		.amdhsa_enable_private_segment 0
		.amdhsa_system_sgpr_workgroup_id_x 1
		.amdhsa_system_sgpr_workgroup_id_y 0
		.amdhsa_system_sgpr_workgroup_id_z 0
		.amdhsa_system_sgpr_workgroup_info 0
		.amdhsa_system_vgpr_workitem_id 0
		.amdhsa_next_free_vgpr 8
		.amdhsa_next_free_sgpr 16
		.amdhsa_reserve_vcc 1
		.amdhsa_float_round_mode_32 0
		.amdhsa_float_round_mode_16_64 0
		.amdhsa_float_denorm_mode_32 3
		.amdhsa_float_denorm_mode_16_64 3
		.amdhsa_dx10_clamp 1
		.amdhsa_ieee_mode 1
		.amdhsa_fp16_overflow 0
		.amdhsa_workgroup_processor_mode 1
		.amdhsa_memory_ordered 1
		.amdhsa_forward_progress 0
		.amdhsa_shared_vgpr_count 0
		.amdhsa_exception_fp_ieee_invalid_op 0
		.amdhsa_exception_fp_denorm_src 0
		.amdhsa_exception_fp_ieee_div_zero 0
		.amdhsa_exception_fp_ieee_overflow 0
		.amdhsa_exception_fp_ieee_underflow 0
		.amdhsa_exception_fp_ieee_inexact 0
		.amdhsa_exception_int_div_zero 0
	.end_amdhsa_kernel
	.section	.text._Z33tail_segmented_warp_reduce_kernelIihLj32ELj4EENSt9enable_ifIXsr10test_utilsE35device_test_enabled_for_warp_size_vIXT2_EEEvE4typeEPT_PT0_S4_,"axG",@progbits,_Z33tail_segmented_warp_reduce_kernelIihLj32ELj4EENSt9enable_ifIXsr10test_utilsE35device_test_enabled_for_warp_size_vIXT2_EEEvE4typeEPT_PT0_S4_,comdat
.Lfunc_end250:
	.size	_Z33tail_segmented_warp_reduce_kernelIihLj32ELj4EENSt9enable_ifIXsr10test_utilsE35device_test_enabled_for_warp_size_vIXT2_EEEvE4typeEPT_PT0_S4_, .Lfunc_end250-_Z33tail_segmented_warp_reduce_kernelIihLj32ELj4EENSt9enable_ifIXsr10test_utilsE35device_test_enabled_for_warp_size_vIXT2_EEEvE4typeEPT_PT0_S4_
                                        ; -- End function
	.section	.AMDGPU.csdata,"",@progbits
; Kernel info:
; codeLenInByte = 292
; NumSgprs: 18
; NumVgprs: 8
; ScratchSize: 0
; MemoryBound: 0
; FloatMode: 240
; IeeeMode: 1
; LDSByteSize: 0 bytes/workgroup (compile time only)
; SGPRBlocks: 2
; VGPRBlocks: 0
; NumSGPRsForWavesPerEU: 18
; NumVGPRsForWavesPerEU: 8
; Occupancy: 16
; WaveLimiterHint : 0
; COMPUTE_PGM_RSRC2:SCRATCH_EN: 0
; COMPUTE_PGM_RSRC2:USER_SGPR: 15
; COMPUTE_PGM_RSRC2:TRAP_HANDLER: 0
; COMPUTE_PGM_RSRC2:TGID_X_EN: 1
; COMPUTE_PGM_RSRC2:TGID_Y_EN: 0
; COMPUTE_PGM_RSRC2:TGID_Z_EN: 0
; COMPUTE_PGM_RSRC2:TIDIG_COMP_CNT: 0
	.section	.text._Z33tail_segmented_warp_reduce_kernelIihLj64ELj4EENSt9enable_ifIXsr10test_utilsE35device_test_enabled_for_warp_size_vIXT2_EEEvE4typeEPT_PT0_S4_,"axG",@progbits,_Z33tail_segmented_warp_reduce_kernelIihLj64ELj4EENSt9enable_ifIXsr10test_utilsE35device_test_enabled_for_warp_size_vIXT2_EEEvE4typeEPT_PT0_S4_,comdat
	.protected	_Z33tail_segmented_warp_reduce_kernelIihLj64ELj4EENSt9enable_ifIXsr10test_utilsE35device_test_enabled_for_warp_size_vIXT2_EEEvE4typeEPT_PT0_S4_ ; -- Begin function _Z33tail_segmented_warp_reduce_kernelIihLj64ELj4EENSt9enable_ifIXsr10test_utilsE35device_test_enabled_for_warp_size_vIXT2_EEEvE4typeEPT_PT0_S4_
	.globl	_Z33tail_segmented_warp_reduce_kernelIihLj64ELj4EENSt9enable_ifIXsr10test_utilsE35device_test_enabled_for_warp_size_vIXT2_EEEvE4typeEPT_PT0_S4_
	.p2align	8
	.type	_Z33tail_segmented_warp_reduce_kernelIihLj64ELj4EENSt9enable_ifIXsr10test_utilsE35device_test_enabled_for_warp_size_vIXT2_EEEvE4typeEPT_PT0_S4_,@function
_Z33tail_segmented_warp_reduce_kernelIihLj64ELj4EENSt9enable_ifIXsr10test_utilsE35device_test_enabled_for_warp_size_vIXT2_EEEvE4typeEPT_PT0_S4_: ; @_Z33tail_segmented_warp_reduce_kernelIihLj64ELj4EENSt9enable_ifIXsr10test_utilsE35device_test_enabled_for_warp_size_vIXT2_EEEvE4typeEPT_PT0_S4_
; %bb.0:
	s_clause 0x2
	s_load_b32 s2, s[0:1], 0x24
	s_load_b128 s[4:7], s[0:1], 0x0
	s_load_b64 s[0:1], s[0:1], 0x10
	s_waitcnt lgkmcnt(0)
	s_and_b32 s2, s2, 0xffff
	s_delay_alu instid0(SALU_CYCLE_1) | instskip(SKIP_1) | instid1(VALU_DEP_1)
	v_mad_u64_u32 v[1:2], null, s15, s2, v[0:1]
	v_mov_b32_e32 v2, 0
	v_lshlrev_b64 v[2:3], 2, v[1:2]
	global_load_u8 v4, v1, s[6:7]
	v_add_co_u32 v0, vcc_lo, s4, v2
	v_add_co_ci_u32_e32 v1, vcc_lo, s5, v3, vcc_lo
	global_load_b32 v0, v[0:1], off
	v_mbcnt_lo_u32_b32 v1, -1, 0
	s_delay_alu instid0(VALU_DEP_1) | instskip(SKIP_1) | instid1(VALU_DEP_2)
	v_and_b32_e32 v5, 3, v1
	v_lshlrev_b32_e64 v7, v1, -1
	v_cmp_ne_u32_e32 vcc_lo, 3, v5
	v_add_co_ci_u32_e32 v6, vcc_lo, 0, v1, vcc_lo
	s_waitcnt vmcnt(1)
	v_cmp_ne_u16_e32 vcc_lo, 0, v4
	s_delay_alu instid0(VALU_DEP_2)
	v_lshlrev_b32_e32 v4, 2, v6
	v_and_b32_e32 v6, 28, v1
	s_waitcnt vmcnt(0)
	ds_bpermute_b32 v4, v4, v0
	v_and_b32_e32 v7, vcc_lo, v7
	v_cmp_gt_u32_e32 vcc_lo, 2, v5
	s_delay_alu instid0(VALU_DEP_2) | instskip(SKIP_1) | instid1(VALU_DEP_2)
	v_lshrrev_b32_e32 v6, v6, v7
	v_cndmask_b32_e64 v7, 0, 1, vcc_lo
	v_or_b32_e32 v6, 8, v6
	s_delay_alu instid0(VALU_DEP_2) | instskip(NEXT) | instid1(VALU_DEP_2)
	v_lshlrev_b32_e32 v7, 1, v7
	v_ctz_i32_b32_e32 v6, v6
	s_delay_alu instid0(VALU_DEP_2) | instskip(NEXT) | instid1(VALU_DEP_2)
	v_add_lshl_u32 v1, v7, v1, 2
	v_cmp_lt_u32_e32 vcc_lo, v5, v6
	s_waitcnt lgkmcnt(0)
	v_cndmask_b32_e32 v4, 0, v4, vcc_lo
	s_delay_alu instid0(VALU_DEP_1)
	v_add_nc_u32_e32 v0, v4, v0
	v_add_nc_u32_e32 v4, 2, v5
	ds_bpermute_b32 v1, v1, v0
	v_cmp_le_u32_e32 vcc_lo, v4, v6
	s_waitcnt lgkmcnt(0)
	v_cndmask_b32_e32 v1, 0, v1, vcc_lo
	s_delay_alu instid0(VALU_DEP_1)
	v_add_nc_u32_e32 v4, v0, v1
	v_add_co_u32 v0, vcc_lo, s0, v2
	v_add_co_ci_u32_e32 v1, vcc_lo, s1, v3, vcc_lo
	global_store_b32 v[0:1], v4, off
	s_nop 0
	s_sendmsg sendmsg(MSG_DEALLOC_VGPRS)
	s_endpgm
	.section	.rodata,"a",@progbits
	.p2align	6, 0x0
	.amdhsa_kernel _Z33tail_segmented_warp_reduce_kernelIihLj64ELj4EENSt9enable_ifIXsr10test_utilsE35device_test_enabled_for_warp_size_vIXT2_EEEvE4typeEPT_PT0_S4_
		.amdhsa_group_segment_fixed_size 0
		.amdhsa_private_segment_fixed_size 0
		.amdhsa_kernarg_size 280
		.amdhsa_user_sgpr_count 15
		.amdhsa_user_sgpr_dispatch_ptr 0
		.amdhsa_user_sgpr_queue_ptr 0
		.amdhsa_user_sgpr_kernarg_segment_ptr 1
		.amdhsa_user_sgpr_dispatch_id 0
		.amdhsa_user_sgpr_private_segment_size 0
		.amdhsa_wavefront_size32 1
		.amdhsa_uses_dynamic_stack 0
		.amdhsa_enable_private_segment 0
		.amdhsa_system_sgpr_workgroup_id_x 1
		.amdhsa_system_sgpr_workgroup_id_y 0
		.amdhsa_system_sgpr_workgroup_id_z 0
		.amdhsa_system_sgpr_workgroup_info 0
		.amdhsa_system_vgpr_workitem_id 0
		.amdhsa_next_free_vgpr 8
		.amdhsa_next_free_sgpr 16
		.amdhsa_reserve_vcc 1
		.amdhsa_float_round_mode_32 0
		.amdhsa_float_round_mode_16_64 0
		.amdhsa_float_denorm_mode_32 3
		.amdhsa_float_denorm_mode_16_64 3
		.amdhsa_dx10_clamp 1
		.amdhsa_ieee_mode 1
		.amdhsa_fp16_overflow 0
		.amdhsa_workgroup_processor_mode 1
		.amdhsa_memory_ordered 1
		.amdhsa_forward_progress 0
		.amdhsa_shared_vgpr_count 0
		.amdhsa_exception_fp_ieee_invalid_op 0
		.amdhsa_exception_fp_denorm_src 0
		.amdhsa_exception_fp_ieee_div_zero 0
		.amdhsa_exception_fp_ieee_overflow 0
		.amdhsa_exception_fp_ieee_underflow 0
		.amdhsa_exception_fp_ieee_inexact 0
		.amdhsa_exception_int_div_zero 0
	.end_amdhsa_kernel
	.section	.text._Z33tail_segmented_warp_reduce_kernelIihLj64ELj4EENSt9enable_ifIXsr10test_utilsE35device_test_enabled_for_warp_size_vIXT2_EEEvE4typeEPT_PT0_S4_,"axG",@progbits,_Z33tail_segmented_warp_reduce_kernelIihLj64ELj4EENSt9enable_ifIXsr10test_utilsE35device_test_enabled_for_warp_size_vIXT2_EEEvE4typeEPT_PT0_S4_,comdat
.Lfunc_end251:
	.size	_Z33tail_segmented_warp_reduce_kernelIihLj64ELj4EENSt9enable_ifIXsr10test_utilsE35device_test_enabled_for_warp_size_vIXT2_EEEvE4typeEPT_PT0_S4_, .Lfunc_end251-_Z33tail_segmented_warp_reduce_kernelIihLj64ELj4EENSt9enable_ifIXsr10test_utilsE35device_test_enabled_for_warp_size_vIXT2_EEEvE4typeEPT_PT0_S4_
                                        ; -- End function
	.section	.AMDGPU.csdata,"",@progbits
; Kernel info:
; codeLenInByte = 292
; NumSgprs: 18
; NumVgprs: 8
; ScratchSize: 0
; MemoryBound: 0
; FloatMode: 240
; IeeeMode: 1
; LDSByteSize: 0 bytes/workgroup (compile time only)
; SGPRBlocks: 2
; VGPRBlocks: 0
; NumSGPRsForWavesPerEU: 18
; NumVGPRsForWavesPerEU: 8
; Occupancy: 16
; WaveLimiterHint : 0
; COMPUTE_PGM_RSRC2:SCRATCH_EN: 0
; COMPUTE_PGM_RSRC2:USER_SGPR: 15
; COMPUTE_PGM_RSRC2:TRAP_HANDLER: 0
; COMPUTE_PGM_RSRC2:TGID_X_EN: 1
; COMPUTE_PGM_RSRC2:TGID_Y_EN: 0
; COMPUTE_PGM_RSRC2:TGID_Z_EN: 0
; COMPUTE_PGM_RSRC2:TIDIG_COMP_CNT: 0
	.section	.text._Z33tail_segmented_warp_reduce_kernelIihLj32ELj2EENSt9enable_ifIXsr10test_utilsE35device_test_enabled_for_warp_size_vIXT2_EEEvE4typeEPT_PT0_S4_,"axG",@progbits,_Z33tail_segmented_warp_reduce_kernelIihLj32ELj2EENSt9enable_ifIXsr10test_utilsE35device_test_enabled_for_warp_size_vIXT2_EEEvE4typeEPT_PT0_S4_,comdat
	.protected	_Z33tail_segmented_warp_reduce_kernelIihLj32ELj2EENSt9enable_ifIXsr10test_utilsE35device_test_enabled_for_warp_size_vIXT2_EEEvE4typeEPT_PT0_S4_ ; -- Begin function _Z33tail_segmented_warp_reduce_kernelIihLj32ELj2EENSt9enable_ifIXsr10test_utilsE35device_test_enabled_for_warp_size_vIXT2_EEEvE4typeEPT_PT0_S4_
	.globl	_Z33tail_segmented_warp_reduce_kernelIihLj32ELj2EENSt9enable_ifIXsr10test_utilsE35device_test_enabled_for_warp_size_vIXT2_EEEvE4typeEPT_PT0_S4_
	.p2align	8
	.type	_Z33tail_segmented_warp_reduce_kernelIihLj32ELj2EENSt9enable_ifIXsr10test_utilsE35device_test_enabled_for_warp_size_vIXT2_EEEvE4typeEPT_PT0_S4_,@function
_Z33tail_segmented_warp_reduce_kernelIihLj32ELj2EENSt9enable_ifIXsr10test_utilsE35device_test_enabled_for_warp_size_vIXT2_EEEvE4typeEPT_PT0_S4_: ; @_Z33tail_segmented_warp_reduce_kernelIihLj32ELj2EENSt9enable_ifIXsr10test_utilsE35device_test_enabled_for_warp_size_vIXT2_EEEvE4typeEPT_PT0_S4_
; %bb.0:
	s_clause 0x2
	s_load_b32 s2, s[0:1], 0x24
	s_load_b128 s[4:7], s[0:1], 0x0
	s_load_b64 s[0:1], s[0:1], 0x10
	s_waitcnt lgkmcnt(0)
	s_and_b32 s2, s2, 0xffff
	s_delay_alu instid0(SALU_CYCLE_1) | instskip(SKIP_1) | instid1(VALU_DEP_1)
	v_mad_u64_u32 v[1:2], null, s15, s2, v[0:1]
	v_mov_b32_e32 v2, 0
	v_lshlrev_b64 v[2:3], 2, v[1:2]
	global_load_u8 v4, v1, s[6:7]
	v_add_co_u32 v0, vcc_lo, s4, v2
	v_add_co_ci_u32_e32 v1, vcc_lo, s5, v3, vcc_lo
	global_load_b32 v0, v[0:1], off
	v_mbcnt_lo_u32_b32 v1, -1, 0
	s_delay_alu instid0(VALU_DEP_1) | instskip(SKIP_3) | instid1(VALU_DEP_3)
	v_lshlrev_b32_e64 v5, v1, -1
	s_waitcnt vmcnt(1)
	v_cmp_ne_u16_e32 vcc_lo, 0, v4
	v_lshl_or_b32 v4, v1, 2, 4
	v_and_b32_e32 v5, vcc_lo, v5
	s_waitcnt vmcnt(0)
	ds_bpermute_b32 v4, v4, v0
	v_and_b32_e32 v6, 30, v1
	v_and_b32_e32 v1, 1, v1
	s_delay_alu instid0(VALU_DEP_2) | instskip(NEXT) | instid1(VALU_DEP_1)
	v_lshrrev_b32_e32 v5, v6, v5
	v_or_b32_e32 v5, 2, v5
	s_delay_alu instid0(VALU_DEP_1) | instskip(NEXT) | instid1(VALU_DEP_1)
	v_ctz_i32_b32_e32 v5, v5
	v_cmp_lt_u32_e32 vcc_lo, v1, v5
	s_waitcnt lgkmcnt(0)
	v_cndmask_b32_e32 v1, 0, v4, vcc_lo
	s_delay_alu instid0(VALU_DEP_1)
	v_add_nc_u32_e32 v4, v1, v0
	v_add_co_u32 v0, vcc_lo, s0, v2
	v_add_co_ci_u32_e32 v1, vcc_lo, s1, v3, vcc_lo
	global_store_b32 v[0:1], v4, off
	s_nop 0
	s_sendmsg sendmsg(MSG_DEALLOC_VGPRS)
	s_endpgm
	.section	.rodata,"a",@progbits
	.p2align	6, 0x0
	.amdhsa_kernel _Z33tail_segmented_warp_reduce_kernelIihLj32ELj2EENSt9enable_ifIXsr10test_utilsE35device_test_enabled_for_warp_size_vIXT2_EEEvE4typeEPT_PT0_S4_
		.amdhsa_group_segment_fixed_size 0
		.amdhsa_private_segment_fixed_size 0
		.amdhsa_kernarg_size 280
		.amdhsa_user_sgpr_count 15
		.amdhsa_user_sgpr_dispatch_ptr 0
		.amdhsa_user_sgpr_queue_ptr 0
		.amdhsa_user_sgpr_kernarg_segment_ptr 1
		.amdhsa_user_sgpr_dispatch_id 0
		.amdhsa_user_sgpr_private_segment_size 0
		.amdhsa_wavefront_size32 1
		.amdhsa_uses_dynamic_stack 0
		.amdhsa_enable_private_segment 0
		.amdhsa_system_sgpr_workgroup_id_x 1
		.amdhsa_system_sgpr_workgroup_id_y 0
		.amdhsa_system_sgpr_workgroup_id_z 0
		.amdhsa_system_sgpr_workgroup_info 0
		.amdhsa_system_vgpr_workitem_id 0
		.amdhsa_next_free_vgpr 7
		.amdhsa_next_free_sgpr 16
		.amdhsa_reserve_vcc 1
		.amdhsa_float_round_mode_32 0
		.amdhsa_float_round_mode_16_64 0
		.amdhsa_float_denorm_mode_32 3
		.amdhsa_float_denorm_mode_16_64 3
		.amdhsa_dx10_clamp 1
		.amdhsa_ieee_mode 1
		.amdhsa_fp16_overflow 0
		.amdhsa_workgroup_processor_mode 1
		.amdhsa_memory_ordered 1
		.amdhsa_forward_progress 0
		.amdhsa_shared_vgpr_count 0
		.amdhsa_exception_fp_ieee_invalid_op 0
		.amdhsa_exception_fp_denorm_src 0
		.amdhsa_exception_fp_ieee_div_zero 0
		.amdhsa_exception_fp_ieee_overflow 0
		.amdhsa_exception_fp_ieee_underflow 0
		.amdhsa_exception_fp_ieee_inexact 0
		.amdhsa_exception_int_div_zero 0
	.end_amdhsa_kernel
	.section	.text._Z33tail_segmented_warp_reduce_kernelIihLj32ELj2EENSt9enable_ifIXsr10test_utilsE35device_test_enabled_for_warp_size_vIXT2_EEEvE4typeEPT_PT0_S4_,"axG",@progbits,_Z33tail_segmented_warp_reduce_kernelIihLj32ELj2EENSt9enable_ifIXsr10test_utilsE35device_test_enabled_for_warp_size_vIXT2_EEEvE4typeEPT_PT0_S4_,comdat
.Lfunc_end252:
	.size	_Z33tail_segmented_warp_reduce_kernelIihLj32ELj2EENSt9enable_ifIXsr10test_utilsE35device_test_enabled_for_warp_size_vIXT2_EEEvE4typeEPT_PT0_S4_, .Lfunc_end252-_Z33tail_segmented_warp_reduce_kernelIihLj32ELj2EENSt9enable_ifIXsr10test_utilsE35device_test_enabled_for_warp_size_vIXT2_EEEvE4typeEPT_PT0_S4_
                                        ; -- End function
	.section	.AMDGPU.csdata,"",@progbits
; Kernel info:
; codeLenInByte = 224
; NumSgprs: 18
; NumVgprs: 7
; ScratchSize: 0
; MemoryBound: 0
; FloatMode: 240
; IeeeMode: 1
; LDSByteSize: 0 bytes/workgroup (compile time only)
; SGPRBlocks: 2
; VGPRBlocks: 0
; NumSGPRsForWavesPerEU: 18
; NumVGPRsForWavesPerEU: 7
; Occupancy: 16
; WaveLimiterHint : 0
; COMPUTE_PGM_RSRC2:SCRATCH_EN: 0
; COMPUTE_PGM_RSRC2:USER_SGPR: 15
; COMPUTE_PGM_RSRC2:TRAP_HANDLER: 0
; COMPUTE_PGM_RSRC2:TGID_X_EN: 1
; COMPUTE_PGM_RSRC2:TGID_Y_EN: 0
; COMPUTE_PGM_RSRC2:TGID_Z_EN: 0
; COMPUTE_PGM_RSRC2:TIDIG_COMP_CNT: 0
	.section	.text._Z33tail_segmented_warp_reduce_kernelIihLj64ELj2EENSt9enable_ifIXsr10test_utilsE35device_test_enabled_for_warp_size_vIXT2_EEEvE4typeEPT_PT0_S4_,"axG",@progbits,_Z33tail_segmented_warp_reduce_kernelIihLj64ELj2EENSt9enable_ifIXsr10test_utilsE35device_test_enabled_for_warp_size_vIXT2_EEEvE4typeEPT_PT0_S4_,comdat
	.protected	_Z33tail_segmented_warp_reduce_kernelIihLj64ELj2EENSt9enable_ifIXsr10test_utilsE35device_test_enabled_for_warp_size_vIXT2_EEEvE4typeEPT_PT0_S4_ ; -- Begin function _Z33tail_segmented_warp_reduce_kernelIihLj64ELj2EENSt9enable_ifIXsr10test_utilsE35device_test_enabled_for_warp_size_vIXT2_EEEvE4typeEPT_PT0_S4_
	.globl	_Z33tail_segmented_warp_reduce_kernelIihLj64ELj2EENSt9enable_ifIXsr10test_utilsE35device_test_enabled_for_warp_size_vIXT2_EEEvE4typeEPT_PT0_S4_
	.p2align	8
	.type	_Z33tail_segmented_warp_reduce_kernelIihLj64ELj2EENSt9enable_ifIXsr10test_utilsE35device_test_enabled_for_warp_size_vIXT2_EEEvE4typeEPT_PT0_S4_,@function
_Z33tail_segmented_warp_reduce_kernelIihLj64ELj2EENSt9enable_ifIXsr10test_utilsE35device_test_enabled_for_warp_size_vIXT2_EEEvE4typeEPT_PT0_S4_: ; @_Z33tail_segmented_warp_reduce_kernelIihLj64ELj2EENSt9enable_ifIXsr10test_utilsE35device_test_enabled_for_warp_size_vIXT2_EEEvE4typeEPT_PT0_S4_
; %bb.0:
	s_clause 0x2
	s_load_b32 s2, s[0:1], 0x24
	s_load_b128 s[4:7], s[0:1], 0x0
	s_load_b64 s[0:1], s[0:1], 0x10
	s_waitcnt lgkmcnt(0)
	s_and_b32 s2, s2, 0xffff
	s_delay_alu instid0(SALU_CYCLE_1) | instskip(SKIP_1) | instid1(VALU_DEP_1)
	v_mad_u64_u32 v[1:2], null, s15, s2, v[0:1]
	v_mov_b32_e32 v2, 0
	v_lshlrev_b64 v[2:3], 2, v[1:2]
	global_load_u8 v4, v1, s[6:7]
	v_add_co_u32 v0, vcc_lo, s4, v2
	v_add_co_ci_u32_e32 v1, vcc_lo, s5, v3, vcc_lo
	global_load_b32 v0, v[0:1], off
	v_mbcnt_lo_u32_b32 v1, -1, 0
	s_delay_alu instid0(VALU_DEP_1) | instskip(SKIP_3) | instid1(VALU_DEP_3)
	v_lshlrev_b32_e64 v5, v1, -1
	s_waitcnt vmcnt(1)
	v_cmp_ne_u16_e32 vcc_lo, 0, v4
	v_lshl_or_b32 v4, v1, 2, 4
	v_and_b32_e32 v5, vcc_lo, v5
	s_waitcnt vmcnt(0)
	ds_bpermute_b32 v4, v4, v0
	v_and_b32_e32 v6, 30, v1
	v_and_b32_e32 v1, 1, v1
	s_delay_alu instid0(VALU_DEP_2) | instskip(NEXT) | instid1(VALU_DEP_1)
	v_lshrrev_b32_e32 v5, v6, v5
	v_or_b32_e32 v5, 2, v5
	s_delay_alu instid0(VALU_DEP_1) | instskip(NEXT) | instid1(VALU_DEP_1)
	v_ctz_i32_b32_e32 v5, v5
	v_cmp_lt_u32_e32 vcc_lo, v1, v5
	s_waitcnt lgkmcnt(0)
	v_cndmask_b32_e32 v1, 0, v4, vcc_lo
	s_delay_alu instid0(VALU_DEP_1)
	v_add_nc_u32_e32 v4, v1, v0
	v_add_co_u32 v0, vcc_lo, s0, v2
	v_add_co_ci_u32_e32 v1, vcc_lo, s1, v3, vcc_lo
	global_store_b32 v[0:1], v4, off
	s_nop 0
	s_sendmsg sendmsg(MSG_DEALLOC_VGPRS)
	s_endpgm
	.section	.rodata,"a",@progbits
	.p2align	6, 0x0
	.amdhsa_kernel _Z33tail_segmented_warp_reduce_kernelIihLj64ELj2EENSt9enable_ifIXsr10test_utilsE35device_test_enabled_for_warp_size_vIXT2_EEEvE4typeEPT_PT0_S4_
		.amdhsa_group_segment_fixed_size 0
		.amdhsa_private_segment_fixed_size 0
		.amdhsa_kernarg_size 280
		.amdhsa_user_sgpr_count 15
		.amdhsa_user_sgpr_dispatch_ptr 0
		.amdhsa_user_sgpr_queue_ptr 0
		.amdhsa_user_sgpr_kernarg_segment_ptr 1
		.amdhsa_user_sgpr_dispatch_id 0
		.amdhsa_user_sgpr_private_segment_size 0
		.amdhsa_wavefront_size32 1
		.amdhsa_uses_dynamic_stack 0
		.amdhsa_enable_private_segment 0
		.amdhsa_system_sgpr_workgroup_id_x 1
		.amdhsa_system_sgpr_workgroup_id_y 0
		.amdhsa_system_sgpr_workgroup_id_z 0
		.amdhsa_system_sgpr_workgroup_info 0
		.amdhsa_system_vgpr_workitem_id 0
		.amdhsa_next_free_vgpr 7
		.amdhsa_next_free_sgpr 16
		.amdhsa_reserve_vcc 1
		.amdhsa_float_round_mode_32 0
		.amdhsa_float_round_mode_16_64 0
		.amdhsa_float_denorm_mode_32 3
		.amdhsa_float_denorm_mode_16_64 3
		.amdhsa_dx10_clamp 1
		.amdhsa_ieee_mode 1
		.amdhsa_fp16_overflow 0
		.amdhsa_workgroup_processor_mode 1
		.amdhsa_memory_ordered 1
		.amdhsa_forward_progress 0
		.amdhsa_shared_vgpr_count 0
		.amdhsa_exception_fp_ieee_invalid_op 0
		.amdhsa_exception_fp_denorm_src 0
		.amdhsa_exception_fp_ieee_div_zero 0
		.amdhsa_exception_fp_ieee_overflow 0
		.amdhsa_exception_fp_ieee_underflow 0
		.amdhsa_exception_fp_ieee_inexact 0
		.amdhsa_exception_int_div_zero 0
	.end_amdhsa_kernel
	.section	.text._Z33tail_segmented_warp_reduce_kernelIihLj64ELj2EENSt9enable_ifIXsr10test_utilsE35device_test_enabled_for_warp_size_vIXT2_EEEvE4typeEPT_PT0_S4_,"axG",@progbits,_Z33tail_segmented_warp_reduce_kernelIihLj64ELj2EENSt9enable_ifIXsr10test_utilsE35device_test_enabled_for_warp_size_vIXT2_EEEvE4typeEPT_PT0_S4_,comdat
.Lfunc_end253:
	.size	_Z33tail_segmented_warp_reduce_kernelIihLj64ELj2EENSt9enable_ifIXsr10test_utilsE35device_test_enabled_for_warp_size_vIXT2_EEEvE4typeEPT_PT0_S4_, .Lfunc_end253-_Z33tail_segmented_warp_reduce_kernelIihLj64ELj2EENSt9enable_ifIXsr10test_utilsE35device_test_enabled_for_warp_size_vIXT2_EEEvE4typeEPT_PT0_S4_
                                        ; -- End function
	.section	.AMDGPU.csdata,"",@progbits
; Kernel info:
; codeLenInByte = 224
; NumSgprs: 18
; NumVgprs: 7
; ScratchSize: 0
; MemoryBound: 0
; FloatMode: 240
; IeeeMode: 1
; LDSByteSize: 0 bytes/workgroup (compile time only)
; SGPRBlocks: 2
; VGPRBlocks: 0
; NumSGPRsForWavesPerEU: 18
; NumVGPRsForWavesPerEU: 7
; Occupancy: 16
; WaveLimiterHint : 0
; COMPUTE_PGM_RSRC2:SCRATCH_EN: 0
; COMPUTE_PGM_RSRC2:USER_SGPR: 15
; COMPUTE_PGM_RSRC2:TRAP_HANDLER: 0
; COMPUTE_PGM_RSRC2:TGID_X_EN: 1
; COMPUTE_PGM_RSRC2:TGID_Y_EN: 0
; COMPUTE_PGM_RSRC2:TGID_Z_EN: 0
; COMPUTE_PGM_RSRC2:TIDIG_COMP_CNT: 0
	.section	.text._Z33tail_segmented_warp_reduce_kernelIihLj32ELj1EENSt9enable_ifIXsr10test_utilsE35device_test_enabled_for_warp_size_vIXT2_EEEvE4typeEPT_PT0_S4_,"axG",@progbits,_Z33tail_segmented_warp_reduce_kernelIihLj32ELj1EENSt9enable_ifIXsr10test_utilsE35device_test_enabled_for_warp_size_vIXT2_EEEvE4typeEPT_PT0_S4_,comdat
	.protected	_Z33tail_segmented_warp_reduce_kernelIihLj32ELj1EENSt9enable_ifIXsr10test_utilsE35device_test_enabled_for_warp_size_vIXT2_EEEvE4typeEPT_PT0_S4_ ; -- Begin function _Z33tail_segmented_warp_reduce_kernelIihLj32ELj1EENSt9enable_ifIXsr10test_utilsE35device_test_enabled_for_warp_size_vIXT2_EEEvE4typeEPT_PT0_S4_
	.globl	_Z33tail_segmented_warp_reduce_kernelIihLj32ELj1EENSt9enable_ifIXsr10test_utilsE35device_test_enabled_for_warp_size_vIXT2_EEEvE4typeEPT_PT0_S4_
	.p2align	8
	.type	_Z33tail_segmented_warp_reduce_kernelIihLj32ELj1EENSt9enable_ifIXsr10test_utilsE35device_test_enabled_for_warp_size_vIXT2_EEEvE4typeEPT_PT0_S4_,@function
_Z33tail_segmented_warp_reduce_kernelIihLj32ELj1EENSt9enable_ifIXsr10test_utilsE35device_test_enabled_for_warp_size_vIXT2_EEEvE4typeEPT_PT0_S4_: ; @_Z33tail_segmented_warp_reduce_kernelIihLj32ELj1EENSt9enable_ifIXsr10test_utilsE35device_test_enabled_for_warp_size_vIXT2_EEEvE4typeEPT_PT0_S4_
; %bb.0:
	s_clause 0x2
	s_load_b32 s4, s[0:1], 0x24
	s_load_b64 s[2:3], s[0:1], 0x0
	s_load_b64 s[0:1], s[0:1], 0x10
	s_waitcnt lgkmcnt(0)
	s_and_b32 s4, s4, 0xffff
	s_delay_alu instid0(SALU_CYCLE_1) | instskip(SKIP_1) | instid1(VALU_DEP_1)
	v_mad_u64_u32 v[1:2], null, s15, s4, v[0:1]
	v_mov_b32_e32 v2, 0
	v_lshlrev_b64 v[0:1], 2, v[1:2]
	s_delay_alu instid0(VALU_DEP_1) | instskip(NEXT) | instid1(VALU_DEP_2)
	v_add_co_u32 v2, vcc_lo, s2, v0
	v_add_co_ci_u32_e32 v3, vcc_lo, s3, v1, vcc_lo
	v_add_co_u32 v0, vcc_lo, s0, v0
	v_add_co_ci_u32_e32 v1, vcc_lo, s1, v1, vcc_lo
	global_load_b32 v2, v[2:3], off
	s_waitcnt vmcnt(0)
	global_store_b32 v[0:1], v2, off
	s_nop 0
	s_sendmsg sendmsg(MSG_DEALLOC_VGPRS)
	s_endpgm
	.section	.rodata,"a",@progbits
	.p2align	6, 0x0
	.amdhsa_kernel _Z33tail_segmented_warp_reduce_kernelIihLj32ELj1EENSt9enable_ifIXsr10test_utilsE35device_test_enabled_for_warp_size_vIXT2_EEEvE4typeEPT_PT0_S4_
		.amdhsa_group_segment_fixed_size 0
		.amdhsa_private_segment_fixed_size 0
		.amdhsa_kernarg_size 280
		.amdhsa_user_sgpr_count 15
		.amdhsa_user_sgpr_dispatch_ptr 0
		.amdhsa_user_sgpr_queue_ptr 0
		.amdhsa_user_sgpr_kernarg_segment_ptr 1
		.amdhsa_user_sgpr_dispatch_id 0
		.amdhsa_user_sgpr_private_segment_size 0
		.amdhsa_wavefront_size32 1
		.amdhsa_uses_dynamic_stack 0
		.amdhsa_enable_private_segment 0
		.amdhsa_system_sgpr_workgroup_id_x 1
		.amdhsa_system_sgpr_workgroup_id_y 0
		.amdhsa_system_sgpr_workgroup_id_z 0
		.amdhsa_system_sgpr_workgroup_info 0
		.amdhsa_system_vgpr_workitem_id 0
		.amdhsa_next_free_vgpr 4
		.amdhsa_next_free_sgpr 16
		.amdhsa_reserve_vcc 1
		.amdhsa_float_round_mode_32 0
		.amdhsa_float_round_mode_16_64 0
		.amdhsa_float_denorm_mode_32 3
		.amdhsa_float_denorm_mode_16_64 3
		.amdhsa_dx10_clamp 1
		.amdhsa_ieee_mode 1
		.amdhsa_fp16_overflow 0
		.amdhsa_workgroup_processor_mode 1
		.amdhsa_memory_ordered 1
		.amdhsa_forward_progress 0
		.amdhsa_shared_vgpr_count 0
		.amdhsa_exception_fp_ieee_invalid_op 0
		.amdhsa_exception_fp_denorm_src 0
		.amdhsa_exception_fp_ieee_div_zero 0
		.amdhsa_exception_fp_ieee_overflow 0
		.amdhsa_exception_fp_ieee_underflow 0
		.amdhsa_exception_fp_ieee_inexact 0
		.amdhsa_exception_int_div_zero 0
	.end_amdhsa_kernel
	.section	.text._Z33tail_segmented_warp_reduce_kernelIihLj32ELj1EENSt9enable_ifIXsr10test_utilsE35device_test_enabled_for_warp_size_vIXT2_EEEvE4typeEPT_PT0_S4_,"axG",@progbits,_Z33tail_segmented_warp_reduce_kernelIihLj32ELj1EENSt9enable_ifIXsr10test_utilsE35device_test_enabled_for_warp_size_vIXT2_EEEvE4typeEPT_PT0_S4_,comdat
.Lfunc_end254:
	.size	_Z33tail_segmented_warp_reduce_kernelIihLj32ELj1EENSt9enable_ifIXsr10test_utilsE35device_test_enabled_for_warp_size_vIXT2_EEEvE4typeEPT_PT0_S4_, .Lfunc_end254-_Z33tail_segmented_warp_reduce_kernelIihLj32ELj1EENSt9enable_ifIXsr10test_utilsE35device_test_enabled_for_warp_size_vIXT2_EEEvE4typeEPT_PT0_S4_
                                        ; -- End function
	.section	.AMDGPU.csdata,"",@progbits
; Kernel info:
; codeLenInByte = 124
; NumSgprs: 18
; NumVgprs: 4
; ScratchSize: 0
; MemoryBound: 0
; FloatMode: 240
; IeeeMode: 1
; LDSByteSize: 0 bytes/workgroup (compile time only)
; SGPRBlocks: 2
; VGPRBlocks: 0
; NumSGPRsForWavesPerEU: 18
; NumVGPRsForWavesPerEU: 4
; Occupancy: 16
; WaveLimiterHint : 0
; COMPUTE_PGM_RSRC2:SCRATCH_EN: 0
; COMPUTE_PGM_RSRC2:USER_SGPR: 15
; COMPUTE_PGM_RSRC2:TRAP_HANDLER: 0
; COMPUTE_PGM_RSRC2:TGID_X_EN: 1
; COMPUTE_PGM_RSRC2:TGID_Y_EN: 0
; COMPUTE_PGM_RSRC2:TGID_Z_EN: 0
; COMPUTE_PGM_RSRC2:TIDIG_COMP_CNT: 0
	.section	.text._Z33tail_segmented_warp_reduce_kernelIihLj64ELj1EENSt9enable_ifIXsr10test_utilsE35device_test_enabled_for_warp_size_vIXT2_EEEvE4typeEPT_PT0_S4_,"axG",@progbits,_Z33tail_segmented_warp_reduce_kernelIihLj64ELj1EENSt9enable_ifIXsr10test_utilsE35device_test_enabled_for_warp_size_vIXT2_EEEvE4typeEPT_PT0_S4_,comdat
	.protected	_Z33tail_segmented_warp_reduce_kernelIihLj64ELj1EENSt9enable_ifIXsr10test_utilsE35device_test_enabled_for_warp_size_vIXT2_EEEvE4typeEPT_PT0_S4_ ; -- Begin function _Z33tail_segmented_warp_reduce_kernelIihLj64ELj1EENSt9enable_ifIXsr10test_utilsE35device_test_enabled_for_warp_size_vIXT2_EEEvE4typeEPT_PT0_S4_
	.globl	_Z33tail_segmented_warp_reduce_kernelIihLj64ELj1EENSt9enable_ifIXsr10test_utilsE35device_test_enabled_for_warp_size_vIXT2_EEEvE4typeEPT_PT0_S4_
	.p2align	8
	.type	_Z33tail_segmented_warp_reduce_kernelIihLj64ELj1EENSt9enable_ifIXsr10test_utilsE35device_test_enabled_for_warp_size_vIXT2_EEEvE4typeEPT_PT0_S4_,@function
_Z33tail_segmented_warp_reduce_kernelIihLj64ELj1EENSt9enable_ifIXsr10test_utilsE35device_test_enabled_for_warp_size_vIXT2_EEEvE4typeEPT_PT0_S4_: ; @_Z33tail_segmented_warp_reduce_kernelIihLj64ELj1EENSt9enable_ifIXsr10test_utilsE35device_test_enabled_for_warp_size_vIXT2_EEEvE4typeEPT_PT0_S4_
; %bb.0:
	s_clause 0x2
	s_load_b32 s4, s[0:1], 0x24
	s_load_b64 s[2:3], s[0:1], 0x0
	s_load_b64 s[0:1], s[0:1], 0x10
	s_waitcnt lgkmcnt(0)
	s_and_b32 s4, s4, 0xffff
	s_delay_alu instid0(SALU_CYCLE_1) | instskip(SKIP_1) | instid1(VALU_DEP_1)
	v_mad_u64_u32 v[1:2], null, s15, s4, v[0:1]
	v_mov_b32_e32 v2, 0
	v_lshlrev_b64 v[0:1], 2, v[1:2]
	s_delay_alu instid0(VALU_DEP_1) | instskip(NEXT) | instid1(VALU_DEP_2)
	v_add_co_u32 v2, vcc_lo, s2, v0
	v_add_co_ci_u32_e32 v3, vcc_lo, s3, v1, vcc_lo
	v_add_co_u32 v0, vcc_lo, s0, v0
	v_add_co_ci_u32_e32 v1, vcc_lo, s1, v1, vcc_lo
	global_load_b32 v2, v[2:3], off
	s_waitcnt vmcnt(0)
	global_store_b32 v[0:1], v2, off
	s_nop 0
	s_sendmsg sendmsg(MSG_DEALLOC_VGPRS)
	s_endpgm
	.section	.rodata,"a",@progbits
	.p2align	6, 0x0
	.amdhsa_kernel _Z33tail_segmented_warp_reduce_kernelIihLj64ELj1EENSt9enable_ifIXsr10test_utilsE35device_test_enabled_for_warp_size_vIXT2_EEEvE4typeEPT_PT0_S4_
		.amdhsa_group_segment_fixed_size 0
		.amdhsa_private_segment_fixed_size 0
		.amdhsa_kernarg_size 280
		.amdhsa_user_sgpr_count 15
		.amdhsa_user_sgpr_dispatch_ptr 0
		.amdhsa_user_sgpr_queue_ptr 0
		.amdhsa_user_sgpr_kernarg_segment_ptr 1
		.amdhsa_user_sgpr_dispatch_id 0
		.amdhsa_user_sgpr_private_segment_size 0
		.amdhsa_wavefront_size32 1
		.amdhsa_uses_dynamic_stack 0
		.amdhsa_enable_private_segment 0
		.amdhsa_system_sgpr_workgroup_id_x 1
		.amdhsa_system_sgpr_workgroup_id_y 0
		.amdhsa_system_sgpr_workgroup_id_z 0
		.amdhsa_system_sgpr_workgroup_info 0
		.amdhsa_system_vgpr_workitem_id 0
		.amdhsa_next_free_vgpr 4
		.amdhsa_next_free_sgpr 16
		.amdhsa_reserve_vcc 1
		.amdhsa_float_round_mode_32 0
		.amdhsa_float_round_mode_16_64 0
		.amdhsa_float_denorm_mode_32 3
		.amdhsa_float_denorm_mode_16_64 3
		.amdhsa_dx10_clamp 1
		.amdhsa_ieee_mode 1
		.amdhsa_fp16_overflow 0
		.amdhsa_workgroup_processor_mode 1
		.amdhsa_memory_ordered 1
		.amdhsa_forward_progress 0
		.amdhsa_shared_vgpr_count 0
		.amdhsa_exception_fp_ieee_invalid_op 0
		.amdhsa_exception_fp_denorm_src 0
		.amdhsa_exception_fp_ieee_div_zero 0
		.amdhsa_exception_fp_ieee_overflow 0
		.amdhsa_exception_fp_ieee_underflow 0
		.amdhsa_exception_fp_ieee_inexact 0
		.amdhsa_exception_int_div_zero 0
	.end_amdhsa_kernel
	.section	.text._Z33tail_segmented_warp_reduce_kernelIihLj64ELj1EENSt9enable_ifIXsr10test_utilsE35device_test_enabled_for_warp_size_vIXT2_EEEvE4typeEPT_PT0_S4_,"axG",@progbits,_Z33tail_segmented_warp_reduce_kernelIihLj64ELj1EENSt9enable_ifIXsr10test_utilsE35device_test_enabled_for_warp_size_vIXT2_EEEvE4typeEPT_PT0_S4_,comdat
.Lfunc_end255:
	.size	_Z33tail_segmented_warp_reduce_kernelIihLj64ELj1EENSt9enable_ifIXsr10test_utilsE35device_test_enabled_for_warp_size_vIXT2_EEEvE4typeEPT_PT0_S4_, .Lfunc_end255-_Z33tail_segmented_warp_reduce_kernelIihLj64ELj1EENSt9enable_ifIXsr10test_utilsE35device_test_enabled_for_warp_size_vIXT2_EEEvE4typeEPT_PT0_S4_
                                        ; -- End function
	.section	.AMDGPU.csdata,"",@progbits
; Kernel info:
; codeLenInByte = 124
; NumSgprs: 18
; NumVgprs: 4
; ScratchSize: 0
; MemoryBound: 0
; FloatMode: 240
; IeeeMode: 1
; LDSByteSize: 0 bytes/workgroup (compile time only)
; SGPRBlocks: 2
; VGPRBlocks: 0
; NumSGPRsForWavesPerEU: 18
; NumVGPRsForWavesPerEU: 4
; Occupancy: 16
; WaveLimiterHint : 0
; COMPUTE_PGM_RSRC2:SCRATCH_EN: 0
; COMPUTE_PGM_RSRC2:USER_SGPR: 15
; COMPUTE_PGM_RSRC2:TRAP_HANDLER: 0
; COMPUTE_PGM_RSRC2:TGID_X_EN: 1
; COMPUTE_PGM_RSRC2:TGID_Y_EN: 0
; COMPUTE_PGM_RSRC2:TGID_Z_EN: 0
; COMPUTE_PGM_RSRC2:TIDIG_COMP_CNT: 0
	.text
	.p2alignl 7, 3214868480
	.fill 96, 4, 3214868480
	.type	__hip_cuid_7a9be4c1d2f8e52a,@object ; @__hip_cuid_7a9be4c1d2f8e52a
	.section	.bss,"aw",@nobits
	.globl	__hip_cuid_7a9be4c1d2f8e52a
__hip_cuid_7a9be4c1d2f8e52a:
	.byte	0                               ; 0x0
	.size	__hip_cuid_7a9be4c1d2f8e52a, 1

	.ident	"AMD clang version 19.0.0git (https://github.com/RadeonOpenCompute/llvm-project roc-6.4.0 25133 c7fe45cf4b819c5991fe208aaa96edf142730f1d)"
	.section	".note.GNU-stack","",@progbits
	.addrsig
	.addrsig_sym __hip_cuid_7a9be4c1d2f8e52a
	.amdgpu_metadata
---
amdhsa.kernels:
  - .args:
      - .address_space:  global
        .offset:         0
        .size:           8
        .value_kind:     global_buffer
      - .address_space:  global
        .offset:         8
        .size:           8
        .value_kind:     global_buffer
    .group_segment_fixed_size: 0
    .kernarg_segment_align: 8
    .kernarg_segment_size: 16
    .language:       OpenCL C
    .language_version:
      - 2
      - 0
    .max_flat_workgroup_size: 1
    .name:           _Z18warp_reduce_kernelIfLj1ELj61EENSt9enable_ifIXntsr10test_utilsE35device_test_enabled_for_warp_size_vIXT1_EEEvE4typeEPT_S4_
    .private_segment_fixed_size: 0
    .sgpr_count:     0
    .sgpr_spill_count: 0
    .symbol:         _Z18warp_reduce_kernelIfLj1ELj61EENSt9enable_ifIXntsr10test_utilsE35device_test_enabled_for_warp_size_vIXT1_EEEvE4typeEPT_S4_.kd
    .uniform_work_group_size: 1
    .uses_dynamic_stack: false
    .vgpr_count:     0
    .vgpr_spill_count: 0
    .wavefront_size: 32
    .workgroup_processor_mode: 1
  - .args:
      - .address_space:  global
        .offset:         0
        .size:           8
        .value_kind:     global_buffer
      - .address_space:  global
        .offset:         8
        .size:           8
        .value_kind:     global_buffer
    .group_segment_fixed_size: 0
    .kernarg_segment_align: 8
    .kernarg_segment_size: 16
    .language:       OpenCL C
    .language_version:
      - 2
      - 0
    .max_flat_workgroup_size: 61
    .name:           _Z18warp_reduce_kernelIfLj61ELj61EENSt9enable_ifIXntsr10test_utilsE35device_test_enabled_for_warp_size_vIXT1_EEEvE4typeEPT_S4_
    .private_segment_fixed_size: 0
    .sgpr_count:     0
    .sgpr_spill_count: 0
    .symbol:         _Z18warp_reduce_kernelIfLj61ELj61EENSt9enable_ifIXntsr10test_utilsE35device_test_enabled_for_warp_size_vIXT1_EEEvE4typeEPT_S4_.kd
    .uniform_work_group_size: 1
    .uses_dynamic_stack: false
    .vgpr_count:     0
    .vgpr_spill_count: 0
    .wavefront_size: 32
    .workgroup_processor_mode: 1
  - .args:
      - .address_space:  global
        .offset:         0
        .size:           8
        .value_kind:     global_buffer
      - .address_space:  global
        .offset:         8
        .size:           8
        .value_kind:     global_buffer
    .group_segment_fixed_size: 0
    .kernarg_segment_align: 8
    .kernarg_segment_size: 16
    .language:       OpenCL C
    .language_version:
      - 2
      - 0
    .max_flat_workgroup_size: 1
    .name:           _Z18warp_reduce_kernelIfLj1ELj37EENSt9enable_ifIXntsr10test_utilsE35device_test_enabled_for_warp_size_vIXT1_EEEvE4typeEPT_S4_
    .private_segment_fixed_size: 0
    .sgpr_count:     0
    .sgpr_spill_count: 0
    .symbol:         _Z18warp_reduce_kernelIfLj1ELj37EENSt9enable_ifIXntsr10test_utilsE35device_test_enabled_for_warp_size_vIXT1_EEEvE4typeEPT_S4_.kd
    .uniform_work_group_size: 1
    .uses_dynamic_stack: false
    .vgpr_count:     0
    .vgpr_spill_count: 0
    .wavefront_size: 32
    .workgroup_processor_mode: 1
  - .args:
      - .address_space:  global
        .offset:         0
        .size:           8
        .value_kind:     global_buffer
      - .address_space:  global
        .offset:         8
        .size:           8
        .value_kind:     global_buffer
    .group_segment_fixed_size: 0
    .kernarg_segment_align: 8
    .kernarg_segment_size: 16
    .language:       OpenCL C
    .language_version:
      - 2
      - 0
    .max_flat_workgroup_size: 37
    .name:           _Z18warp_reduce_kernelIfLj37ELj37EENSt9enable_ifIXntsr10test_utilsE35device_test_enabled_for_warp_size_vIXT1_EEEvE4typeEPT_S4_
    .private_segment_fixed_size: 0
    .sgpr_count:     0
    .sgpr_spill_count: 0
    .symbol:         _Z18warp_reduce_kernelIfLj37ELj37EENSt9enable_ifIXntsr10test_utilsE35device_test_enabled_for_warp_size_vIXT1_EEEvE4typeEPT_S4_.kd
    .uniform_work_group_size: 1
    .uses_dynamic_stack: false
    .vgpr_count:     0
    .vgpr_spill_count: 0
    .wavefront_size: 32
    .workgroup_processor_mode: 1
  - .args:
      - .address_space:  global
        .offset:         0
        .size:           8
        .value_kind:     global_buffer
      - .address_space:  global
        .offset:         8
        .size:           8
        .value_kind:     global_buffer
      - .offset:         16
        .size:           4
        .value_kind:     hidden_block_count_x
      - .offset:         20
        .size:           4
        .value_kind:     hidden_block_count_y
      - .offset:         24
        .size:           4
        .value_kind:     hidden_block_count_z
      - .offset:         28
        .size:           2
        .value_kind:     hidden_group_size_x
      - .offset:         30
        .size:           2
        .value_kind:     hidden_group_size_y
      - .offset:         32
        .size:           2
        .value_kind:     hidden_group_size_z
      - .offset:         34
        .size:           2
        .value_kind:     hidden_remainder_x
      - .offset:         36
        .size:           2
        .value_kind:     hidden_remainder_y
      - .offset:         38
        .size:           2
        .value_kind:     hidden_remainder_z
      - .offset:         56
        .size:           8
        .value_kind:     hidden_global_offset_x
      - .offset:         64
        .size:           8
        .value_kind:     hidden_global_offset_y
      - .offset:         72
        .size:           8
        .value_kind:     hidden_global_offset_z
      - .offset:         80
        .size:           2
        .value_kind:     hidden_grid_dims
    .group_segment_fixed_size: 120
    .kernarg_segment_align: 8
    .kernarg_segment_size: 272
    .language:       OpenCL C
    .language_version:
      - 2
      - 0
    .max_flat_workgroup_size: 30
    .name:           _Z18warp_reduce_kernelIfLj30ELj15EENSt9enable_ifIXsr10test_utilsE35device_test_enabled_for_warp_size_vIXT1_EEEvE4typeEPT_S4_
    .private_segment_fixed_size: 0
    .sgpr_count:     18
    .sgpr_spill_count: 0
    .symbol:         _Z18warp_reduce_kernelIfLj30ELj15EENSt9enable_ifIXsr10test_utilsE35device_test_enabled_for_warp_size_vIXT1_EEEvE4typeEPT_S4_.kd
    .uniform_work_group_size: 1
    .uses_dynamic_stack: false
    .vgpr_count:     8
    .vgpr_spill_count: 0
    .wavefront_size: 32
    .workgroup_processor_mode: 1
  - .args:
      - .address_space:  global
        .offset:         0
        .size:           8
        .value_kind:     global_buffer
      - .address_space:  global
        .offset:         8
        .size:           8
        .value_kind:     global_buffer
      - .offset:         16
        .size:           4
        .value_kind:     hidden_block_count_x
      - .offset:         20
        .size:           4
        .value_kind:     hidden_block_count_y
      - .offset:         24
        .size:           4
        .value_kind:     hidden_block_count_z
      - .offset:         28
        .size:           2
        .value_kind:     hidden_group_size_x
      - .offset:         30
        .size:           2
        .value_kind:     hidden_group_size_y
      - .offset:         32
        .size:           2
        .value_kind:     hidden_group_size_z
      - .offset:         34
        .size:           2
        .value_kind:     hidden_remainder_x
      - .offset:         36
        .size:           2
        .value_kind:     hidden_remainder_y
      - .offset:         38
        .size:           2
        .value_kind:     hidden_remainder_z
      - .offset:         56
        .size:           8
        .value_kind:     hidden_global_offset_x
      - .offset:         64
        .size:           8
        .value_kind:     hidden_global_offset_y
      - .offset:         72
        .size:           8
        .value_kind:     hidden_global_offset_z
      - .offset:         80
        .size:           2
        .value_kind:     hidden_grid_dims
    .group_segment_fixed_size: 240
    .kernarg_segment_align: 8
    .kernarg_segment_size: 272
    .language:       OpenCL C
    .language_version:
      - 2
      - 0
    .max_flat_workgroup_size: 60
    .name:           _Z18warp_reduce_kernelIfLj60ELj15EENSt9enable_ifIXsr10test_utilsE35device_test_enabled_for_warp_size_vIXT1_EEEvE4typeEPT_S4_
    .private_segment_fixed_size: 0
    .sgpr_count:     18
    .sgpr_spill_count: 0
    .symbol:         _Z18warp_reduce_kernelIfLj60ELj15EENSt9enable_ifIXsr10test_utilsE35device_test_enabled_for_warp_size_vIXT1_EEEvE4typeEPT_S4_.kd
    .uniform_work_group_size: 1
    .uses_dynamic_stack: false
    .vgpr_count:     8
    .vgpr_spill_count: 0
    .wavefront_size: 32
    .workgroup_processor_mode: 1
  - .args:
      - .address_space:  global
        .offset:         0
        .size:           8
        .value_kind:     global_buffer
      - .address_space:  global
        .offset:         8
        .size:           8
        .value_kind:     global_buffer
      - .offset:         16
        .size:           4
        .value_kind:     hidden_block_count_x
      - .offset:         20
        .size:           4
        .value_kind:     hidden_block_count_y
      - .offset:         24
        .size:           4
        .value_kind:     hidden_block_count_z
      - .offset:         28
        .size:           2
        .value_kind:     hidden_group_size_x
      - .offset:         30
        .size:           2
        .value_kind:     hidden_group_size_y
      - .offset:         32
        .size:           2
        .value_kind:     hidden_group_size_z
      - .offset:         34
        .size:           2
        .value_kind:     hidden_remainder_x
      - .offset:         36
        .size:           2
        .value_kind:     hidden_remainder_y
      - .offset:         38
        .size:           2
        .value_kind:     hidden_remainder_z
      - .offset:         56
        .size:           8
        .value_kind:     hidden_global_offset_x
      - .offset:         64
        .size:           8
        .value_kind:     hidden_global_offset_y
      - .offset:         72
        .size:           8
        .value_kind:     hidden_global_offset_z
      - .offset:         80
        .size:           2
        .value_kind:     hidden_grid_dims
    .group_segment_fixed_size: 112
    .kernarg_segment_align: 8
    .kernarg_segment_size: 272
    .language:       OpenCL C
    .language_version:
      - 2
      - 0
    .max_flat_workgroup_size: 28
    .name:           _Z18warp_reduce_kernelIfLj28ELj7EENSt9enable_ifIXsr10test_utilsE35device_test_enabled_for_warp_size_vIXT1_EEEvE4typeEPT_S4_
    .private_segment_fixed_size: 0
    .sgpr_count:     18
    .sgpr_spill_count: 0
    .symbol:         _Z18warp_reduce_kernelIfLj28ELj7EENSt9enable_ifIXsr10test_utilsE35device_test_enabled_for_warp_size_vIXT1_EEEvE4typeEPT_S4_.kd
    .uniform_work_group_size: 1
    .uses_dynamic_stack: false
    .vgpr_count:     8
    .vgpr_spill_count: 0
    .wavefront_size: 32
    .workgroup_processor_mode: 1
  - .args:
      - .address_space:  global
        .offset:         0
        .size:           8
        .value_kind:     global_buffer
      - .address_space:  global
        .offset:         8
        .size:           8
        .value_kind:     global_buffer
      - .offset:         16
        .size:           4
        .value_kind:     hidden_block_count_x
      - .offset:         20
        .size:           4
        .value_kind:     hidden_block_count_y
      - .offset:         24
        .size:           4
        .value_kind:     hidden_block_count_z
      - .offset:         28
        .size:           2
        .value_kind:     hidden_group_size_x
      - .offset:         30
        .size:           2
        .value_kind:     hidden_group_size_y
      - .offset:         32
        .size:           2
        .value_kind:     hidden_group_size_z
      - .offset:         34
        .size:           2
        .value_kind:     hidden_remainder_x
      - .offset:         36
        .size:           2
        .value_kind:     hidden_remainder_y
      - .offset:         38
        .size:           2
        .value_kind:     hidden_remainder_z
      - .offset:         56
        .size:           8
        .value_kind:     hidden_global_offset_x
      - .offset:         64
        .size:           8
        .value_kind:     hidden_global_offset_y
      - .offset:         72
        .size:           8
        .value_kind:     hidden_global_offset_z
      - .offset:         80
        .size:           2
        .value_kind:     hidden_grid_dims
    .group_segment_fixed_size: 252
    .kernarg_segment_align: 8
    .kernarg_segment_size: 272
    .language:       OpenCL C
    .language_version:
      - 2
      - 0
    .max_flat_workgroup_size: 63
    .name:           _Z18warp_reduce_kernelIfLj63ELj7EENSt9enable_ifIXsr10test_utilsE35device_test_enabled_for_warp_size_vIXT1_EEEvE4typeEPT_S4_
    .private_segment_fixed_size: 0
    .sgpr_count:     18
    .sgpr_spill_count: 0
    .symbol:         _Z18warp_reduce_kernelIfLj63ELj7EENSt9enable_ifIXsr10test_utilsE35device_test_enabled_for_warp_size_vIXT1_EEEvE4typeEPT_S4_.kd
    .uniform_work_group_size: 1
    .uses_dynamic_stack: false
    .vgpr_count:     8
    .vgpr_spill_count: 0
    .wavefront_size: 32
    .workgroup_processor_mode: 1
  - .args:
      - .address_space:  global
        .offset:         0
        .size:           8
        .value_kind:     global_buffer
      - .address_space:  global
        .offset:         8
        .size:           8
        .value_kind:     global_buffer
      - .offset:         16
        .size:           4
        .value_kind:     hidden_block_count_x
      - .offset:         20
        .size:           4
        .value_kind:     hidden_block_count_y
      - .offset:         24
        .size:           4
        .value_kind:     hidden_block_count_z
      - .offset:         28
        .size:           2
        .value_kind:     hidden_group_size_x
      - .offset:         30
        .size:           2
        .value_kind:     hidden_group_size_y
      - .offset:         32
        .size:           2
        .value_kind:     hidden_group_size_z
      - .offset:         34
        .size:           2
        .value_kind:     hidden_remainder_x
      - .offset:         36
        .size:           2
        .value_kind:     hidden_remainder_y
      - .offset:         38
        .size:           2
        .value_kind:     hidden_remainder_z
      - .offset:         56
        .size:           8
        .value_kind:     hidden_global_offset_x
      - .offset:         64
        .size:           8
        .value_kind:     hidden_global_offset_y
      - .offset:         72
        .size:           8
        .value_kind:     hidden_global_offset_z
      - .offset:         80
        .size:           2
        .value_kind:     hidden_grid_dims
    .group_segment_fixed_size: 120
    .kernarg_segment_align: 8
    .kernarg_segment_size: 272
    .language:       OpenCL C
    .language_version:
      - 2
      - 0
    .max_flat_workgroup_size: 30
    .name:           _Z18warp_reduce_kernelIfLj30ELj3EENSt9enable_ifIXsr10test_utilsE35device_test_enabled_for_warp_size_vIXT1_EEEvE4typeEPT_S4_
    .private_segment_fixed_size: 0
    .sgpr_count:     18
    .sgpr_spill_count: 0
    .symbol:         _Z18warp_reduce_kernelIfLj30ELj3EENSt9enable_ifIXsr10test_utilsE35device_test_enabled_for_warp_size_vIXT1_EEEvE4typeEPT_S4_.kd
    .uniform_work_group_size: 1
    .uses_dynamic_stack: false
    .vgpr_count:     7
    .vgpr_spill_count: 0
    .wavefront_size: 32
    .workgroup_processor_mode: 1
  - .args:
      - .address_space:  global
        .offset:         0
        .size:           8
        .value_kind:     global_buffer
      - .address_space:  global
        .offset:         8
        .size:           8
        .value_kind:     global_buffer
      - .offset:         16
        .size:           4
        .value_kind:     hidden_block_count_x
      - .offset:         20
        .size:           4
        .value_kind:     hidden_block_count_y
      - .offset:         24
        .size:           4
        .value_kind:     hidden_block_count_z
      - .offset:         28
        .size:           2
        .value_kind:     hidden_group_size_x
      - .offset:         30
        .size:           2
        .value_kind:     hidden_group_size_y
      - .offset:         32
        .size:           2
        .value_kind:     hidden_group_size_z
      - .offset:         34
        .size:           2
        .value_kind:     hidden_remainder_x
      - .offset:         36
        .size:           2
        .value_kind:     hidden_remainder_y
      - .offset:         38
        .size:           2
        .value_kind:     hidden_remainder_z
      - .offset:         56
        .size:           8
        .value_kind:     hidden_global_offset_x
      - .offset:         64
        .size:           8
        .value_kind:     hidden_global_offset_y
      - .offset:         72
        .size:           8
        .value_kind:     hidden_global_offset_z
      - .offset:         80
        .size:           2
        .value_kind:     hidden_grid_dims
    .group_segment_fixed_size: 252
    .kernarg_segment_align: 8
    .kernarg_segment_size: 272
    .language:       OpenCL C
    .language_version:
      - 2
      - 0
    .max_flat_workgroup_size: 63
    .name:           _Z18warp_reduce_kernelIfLj63ELj3EENSt9enable_ifIXsr10test_utilsE35device_test_enabled_for_warp_size_vIXT1_EEEvE4typeEPT_S4_
    .private_segment_fixed_size: 0
    .sgpr_count:     18
    .sgpr_spill_count: 0
    .symbol:         _Z18warp_reduce_kernelIfLj63ELj3EENSt9enable_ifIXsr10test_utilsE35device_test_enabled_for_warp_size_vIXT1_EEEvE4typeEPT_S4_.kd
    .uniform_work_group_size: 1
    .uses_dynamic_stack: false
    .vgpr_count:     7
    .vgpr_spill_count: 0
    .wavefront_size: 32
    .workgroup_processor_mode: 1
  - .args:
      - .address_space:  global
        .offset:         0
        .size:           8
        .value_kind:     global_buffer
      - .address_space:  global
        .offset:         8
        .size:           8
        .value_kind:     global_buffer
    .group_segment_fixed_size: 0
    .kernarg_segment_align: 8
    .kernarg_segment_size: 16
    .language:       OpenCL C
    .language_version:
      - 2
      - 0
    .max_flat_workgroup_size: 1
    .name:           _Z18warp_reduce_kernelIiLj1ELj61EENSt9enable_ifIXntsr10test_utilsE35device_test_enabled_for_warp_size_vIXT1_EEEvE4typeEPT_S4_
    .private_segment_fixed_size: 0
    .sgpr_count:     0
    .sgpr_spill_count: 0
    .symbol:         _Z18warp_reduce_kernelIiLj1ELj61EENSt9enable_ifIXntsr10test_utilsE35device_test_enabled_for_warp_size_vIXT1_EEEvE4typeEPT_S4_.kd
    .uniform_work_group_size: 1
    .uses_dynamic_stack: false
    .vgpr_count:     0
    .vgpr_spill_count: 0
    .wavefront_size: 32
    .workgroup_processor_mode: 1
  - .args:
      - .address_space:  global
        .offset:         0
        .size:           8
        .value_kind:     global_buffer
      - .address_space:  global
        .offset:         8
        .size:           8
        .value_kind:     global_buffer
    .group_segment_fixed_size: 0
    .kernarg_segment_align: 8
    .kernarg_segment_size: 16
    .language:       OpenCL C
    .language_version:
      - 2
      - 0
    .max_flat_workgroup_size: 61
    .name:           _Z18warp_reduce_kernelIiLj61ELj61EENSt9enable_ifIXntsr10test_utilsE35device_test_enabled_for_warp_size_vIXT1_EEEvE4typeEPT_S4_
    .private_segment_fixed_size: 0
    .sgpr_count:     0
    .sgpr_spill_count: 0
    .symbol:         _Z18warp_reduce_kernelIiLj61ELj61EENSt9enable_ifIXntsr10test_utilsE35device_test_enabled_for_warp_size_vIXT1_EEEvE4typeEPT_S4_.kd
    .uniform_work_group_size: 1
    .uses_dynamic_stack: false
    .vgpr_count:     0
    .vgpr_spill_count: 0
    .wavefront_size: 32
    .workgroup_processor_mode: 1
  - .args:
      - .address_space:  global
        .offset:         0
        .size:           8
        .value_kind:     global_buffer
      - .address_space:  global
        .offset:         8
        .size:           8
        .value_kind:     global_buffer
    .group_segment_fixed_size: 0
    .kernarg_segment_align: 8
    .kernarg_segment_size: 16
    .language:       OpenCL C
    .language_version:
      - 2
      - 0
    .max_flat_workgroup_size: 1
    .name:           _Z18warp_reduce_kernelIiLj1ELj37EENSt9enable_ifIXntsr10test_utilsE35device_test_enabled_for_warp_size_vIXT1_EEEvE4typeEPT_S4_
    .private_segment_fixed_size: 0
    .sgpr_count:     0
    .sgpr_spill_count: 0
    .symbol:         _Z18warp_reduce_kernelIiLj1ELj37EENSt9enable_ifIXntsr10test_utilsE35device_test_enabled_for_warp_size_vIXT1_EEEvE4typeEPT_S4_.kd
    .uniform_work_group_size: 1
    .uses_dynamic_stack: false
    .vgpr_count:     0
    .vgpr_spill_count: 0
    .wavefront_size: 32
    .workgroup_processor_mode: 1
  - .args:
      - .address_space:  global
        .offset:         0
        .size:           8
        .value_kind:     global_buffer
      - .address_space:  global
        .offset:         8
        .size:           8
        .value_kind:     global_buffer
    .group_segment_fixed_size: 0
    .kernarg_segment_align: 8
    .kernarg_segment_size: 16
    .language:       OpenCL C
    .language_version:
      - 2
      - 0
    .max_flat_workgroup_size: 37
    .name:           _Z18warp_reduce_kernelIiLj37ELj37EENSt9enable_ifIXntsr10test_utilsE35device_test_enabled_for_warp_size_vIXT1_EEEvE4typeEPT_S4_
    .private_segment_fixed_size: 0
    .sgpr_count:     0
    .sgpr_spill_count: 0
    .symbol:         _Z18warp_reduce_kernelIiLj37ELj37EENSt9enable_ifIXntsr10test_utilsE35device_test_enabled_for_warp_size_vIXT1_EEEvE4typeEPT_S4_.kd
    .uniform_work_group_size: 1
    .uses_dynamic_stack: false
    .vgpr_count:     0
    .vgpr_spill_count: 0
    .wavefront_size: 32
    .workgroup_processor_mode: 1
  - .args:
      - .address_space:  global
        .offset:         0
        .size:           8
        .value_kind:     global_buffer
      - .address_space:  global
        .offset:         8
        .size:           8
        .value_kind:     global_buffer
      - .offset:         16
        .size:           4
        .value_kind:     hidden_block_count_x
      - .offset:         20
        .size:           4
        .value_kind:     hidden_block_count_y
      - .offset:         24
        .size:           4
        .value_kind:     hidden_block_count_z
      - .offset:         28
        .size:           2
        .value_kind:     hidden_group_size_x
      - .offset:         30
        .size:           2
        .value_kind:     hidden_group_size_y
      - .offset:         32
        .size:           2
        .value_kind:     hidden_group_size_z
      - .offset:         34
        .size:           2
        .value_kind:     hidden_remainder_x
      - .offset:         36
        .size:           2
        .value_kind:     hidden_remainder_y
      - .offset:         38
        .size:           2
        .value_kind:     hidden_remainder_z
      - .offset:         56
        .size:           8
        .value_kind:     hidden_global_offset_x
      - .offset:         64
        .size:           8
        .value_kind:     hidden_global_offset_y
      - .offset:         72
        .size:           8
        .value_kind:     hidden_global_offset_z
      - .offset:         80
        .size:           2
        .value_kind:     hidden_grid_dims
    .group_segment_fixed_size: 120
    .kernarg_segment_align: 8
    .kernarg_segment_size: 272
    .language:       OpenCL C
    .language_version:
      - 2
      - 0
    .max_flat_workgroup_size: 30
    .name:           _Z18warp_reduce_kernelIiLj30ELj15EENSt9enable_ifIXsr10test_utilsE35device_test_enabled_for_warp_size_vIXT1_EEEvE4typeEPT_S4_
    .private_segment_fixed_size: 0
    .sgpr_count:     18
    .sgpr_spill_count: 0
    .symbol:         _Z18warp_reduce_kernelIiLj30ELj15EENSt9enable_ifIXsr10test_utilsE35device_test_enabled_for_warp_size_vIXT1_EEEvE4typeEPT_S4_.kd
    .uniform_work_group_size: 1
    .uses_dynamic_stack: false
    .vgpr_count:     8
    .vgpr_spill_count: 0
    .wavefront_size: 32
    .workgroup_processor_mode: 1
  - .args:
      - .address_space:  global
        .offset:         0
        .size:           8
        .value_kind:     global_buffer
      - .address_space:  global
        .offset:         8
        .size:           8
        .value_kind:     global_buffer
      - .offset:         16
        .size:           4
        .value_kind:     hidden_block_count_x
      - .offset:         20
        .size:           4
        .value_kind:     hidden_block_count_y
      - .offset:         24
        .size:           4
        .value_kind:     hidden_block_count_z
      - .offset:         28
        .size:           2
        .value_kind:     hidden_group_size_x
      - .offset:         30
        .size:           2
        .value_kind:     hidden_group_size_y
      - .offset:         32
        .size:           2
        .value_kind:     hidden_group_size_z
      - .offset:         34
        .size:           2
        .value_kind:     hidden_remainder_x
      - .offset:         36
        .size:           2
        .value_kind:     hidden_remainder_y
      - .offset:         38
        .size:           2
        .value_kind:     hidden_remainder_z
      - .offset:         56
        .size:           8
        .value_kind:     hidden_global_offset_x
      - .offset:         64
        .size:           8
        .value_kind:     hidden_global_offset_y
      - .offset:         72
        .size:           8
        .value_kind:     hidden_global_offset_z
      - .offset:         80
        .size:           2
        .value_kind:     hidden_grid_dims
    .group_segment_fixed_size: 240
    .kernarg_segment_align: 8
    .kernarg_segment_size: 272
    .language:       OpenCL C
    .language_version:
      - 2
      - 0
    .max_flat_workgroup_size: 60
    .name:           _Z18warp_reduce_kernelIiLj60ELj15EENSt9enable_ifIXsr10test_utilsE35device_test_enabled_for_warp_size_vIXT1_EEEvE4typeEPT_S4_
    .private_segment_fixed_size: 0
    .sgpr_count:     18
    .sgpr_spill_count: 0
    .symbol:         _Z18warp_reduce_kernelIiLj60ELj15EENSt9enable_ifIXsr10test_utilsE35device_test_enabled_for_warp_size_vIXT1_EEEvE4typeEPT_S4_.kd
    .uniform_work_group_size: 1
    .uses_dynamic_stack: false
    .vgpr_count:     8
    .vgpr_spill_count: 0
    .wavefront_size: 32
    .workgroup_processor_mode: 1
  - .args:
      - .address_space:  global
        .offset:         0
        .size:           8
        .value_kind:     global_buffer
      - .address_space:  global
        .offset:         8
        .size:           8
        .value_kind:     global_buffer
      - .offset:         16
        .size:           4
        .value_kind:     hidden_block_count_x
      - .offset:         20
        .size:           4
        .value_kind:     hidden_block_count_y
      - .offset:         24
        .size:           4
        .value_kind:     hidden_block_count_z
      - .offset:         28
        .size:           2
        .value_kind:     hidden_group_size_x
      - .offset:         30
        .size:           2
        .value_kind:     hidden_group_size_y
      - .offset:         32
        .size:           2
        .value_kind:     hidden_group_size_z
      - .offset:         34
        .size:           2
        .value_kind:     hidden_remainder_x
      - .offset:         36
        .size:           2
        .value_kind:     hidden_remainder_y
      - .offset:         38
        .size:           2
        .value_kind:     hidden_remainder_z
      - .offset:         56
        .size:           8
        .value_kind:     hidden_global_offset_x
      - .offset:         64
        .size:           8
        .value_kind:     hidden_global_offset_y
      - .offset:         72
        .size:           8
        .value_kind:     hidden_global_offset_z
      - .offset:         80
        .size:           2
        .value_kind:     hidden_grid_dims
    .group_segment_fixed_size: 112
    .kernarg_segment_align: 8
    .kernarg_segment_size: 272
    .language:       OpenCL C
    .language_version:
      - 2
      - 0
    .max_flat_workgroup_size: 28
    .name:           _Z18warp_reduce_kernelIiLj28ELj7EENSt9enable_ifIXsr10test_utilsE35device_test_enabled_for_warp_size_vIXT1_EEEvE4typeEPT_S4_
    .private_segment_fixed_size: 0
    .sgpr_count:     18
    .sgpr_spill_count: 0
    .symbol:         _Z18warp_reduce_kernelIiLj28ELj7EENSt9enable_ifIXsr10test_utilsE35device_test_enabled_for_warp_size_vIXT1_EEEvE4typeEPT_S4_.kd
    .uniform_work_group_size: 1
    .uses_dynamic_stack: false
    .vgpr_count:     8
    .vgpr_spill_count: 0
    .wavefront_size: 32
    .workgroup_processor_mode: 1
  - .args:
      - .address_space:  global
        .offset:         0
        .size:           8
        .value_kind:     global_buffer
      - .address_space:  global
        .offset:         8
        .size:           8
        .value_kind:     global_buffer
      - .offset:         16
        .size:           4
        .value_kind:     hidden_block_count_x
      - .offset:         20
        .size:           4
        .value_kind:     hidden_block_count_y
      - .offset:         24
        .size:           4
        .value_kind:     hidden_block_count_z
      - .offset:         28
        .size:           2
        .value_kind:     hidden_group_size_x
      - .offset:         30
        .size:           2
        .value_kind:     hidden_group_size_y
      - .offset:         32
        .size:           2
        .value_kind:     hidden_group_size_z
      - .offset:         34
        .size:           2
        .value_kind:     hidden_remainder_x
      - .offset:         36
        .size:           2
        .value_kind:     hidden_remainder_y
      - .offset:         38
        .size:           2
        .value_kind:     hidden_remainder_z
      - .offset:         56
        .size:           8
        .value_kind:     hidden_global_offset_x
      - .offset:         64
        .size:           8
        .value_kind:     hidden_global_offset_y
      - .offset:         72
        .size:           8
        .value_kind:     hidden_global_offset_z
      - .offset:         80
        .size:           2
        .value_kind:     hidden_grid_dims
    .group_segment_fixed_size: 252
    .kernarg_segment_align: 8
    .kernarg_segment_size: 272
    .language:       OpenCL C
    .language_version:
      - 2
      - 0
    .max_flat_workgroup_size: 63
    .name:           _Z18warp_reduce_kernelIiLj63ELj7EENSt9enable_ifIXsr10test_utilsE35device_test_enabled_for_warp_size_vIXT1_EEEvE4typeEPT_S4_
    .private_segment_fixed_size: 0
    .sgpr_count:     18
    .sgpr_spill_count: 0
    .symbol:         _Z18warp_reduce_kernelIiLj63ELj7EENSt9enable_ifIXsr10test_utilsE35device_test_enabled_for_warp_size_vIXT1_EEEvE4typeEPT_S4_.kd
    .uniform_work_group_size: 1
    .uses_dynamic_stack: false
    .vgpr_count:     8
    .vgpr_spill_count: 0
    .wavefront_size: 32
    .workgroup_processor_mode: 1
  - .args:
      - .address_space:  global
        .offset:         0
        .size:           8
        .value_kind:     global_buffer
      - .address_space:  global
        .offset:         8
        .size:           8
        .value_kind:     global_buffer
      - .offset:         16
        .size:           4
        .value_kind:     hidden_block_count_x
      - .offset:         20
        .size:           4
        .value_kind:     hidden_block_count_y
      - .offset:         24
        .size:           4
        .value_kind:     hidden_block_count_z
      - .offset:         28
        .size:           2
        .value_kind:     hidden_group_size_x
      - .offset:         30
        .size:           2
        .value_kind:     hidden_group_size_y
      - .offset:         32
        .size:           2
        .value_kind:     hidden_group_size_z
      - .offset:         34
        .size:           2
        .value_kind:     hidden_remainder_x
      - .offset:         36
        .size:           2
        .value_kind:     hidden_remainder_y
      - .offset:         38
        .size:           2
        .value_kind:     hidden_remainder_z
      - .offset:         56
        .size:           8
        .value_kind:     hidden_global_offset_x
      - .offset:         64
        .size:           8
        .value_kind:     hidden_global_offset_y
      - .offset:         72
        .size:           8
        .value_kind:     hidden_global_offset_z
      - .offset:         80
        .size:           2
        .value_kind:     hidden_grid_dims
    .group_segment_fixed_size: 120
    .kernarg_segment_align: 8
    .kernarg_segment_size: 272
    .language:       OpenCL C
    .language_version:
      - 2
      - 0
    .max_flat_workgroup_size: 30
    .name:           _Z18warp_reduce_kernelIiLj30ELj3EENSt9enable_ifIXsr10test_utilsE35device_test_enabled_for_warp_size_vIXT1_EEEvE4typeEPT_S4_
    .private_segment_fixed_size: 0
    .sgpr_count:     18
    .sgpr_spill_count: 0
    .symbol:         _Z18warp_reduce_kernelIiLj30ELj3EENSt9enable_ifIXsr10test_utilsE35device_test_enabled_for_warp_size_vIXT1_EEEvE4typeEPT_S4_.kd
    .uniform_work_group_size: 1
    .uses_dynamic_stack: false
    .vgpr_count:     7
    .vgpr_spill_count: 0
    .wavefront_size: 32
    .workgroup_processor_mode: 1
  - .args:
      - .address_space:  global
        .offset:         0
        .size:           8
        .value_kind:     global_buffer
      - .address_space:  global
        .offset:         8
        .size:           8
        .value_kind:     global_buffer
      - .offset:         16
        .size:           4
        .value_kind:     hidden_block_count_x
      - .offset:         20
        .size:           4
        .value_kind:     hidden_block_count_y
      - .offset:         24
        .size:           4
        .value_kind:     hidden_block_count_z
      - .offset:         28
        .size:           2
        .value_kind:     hidden_group_size_x
      - .offset:         30
        .size:           2
        .value_kind:     hidden_group_size_y
      - .offset:         32
        .size:           2
        .value_kind:     hidden_group_size_z
      - .offset:         34
        .size:           2
        .value_kind:     hidden_remainder_x
      - .offset:         36
        .size:           2
        .value_kind:     hidden_remainder_y
      - .offset:         38
        .size:           2
        .value_kind:     hidden_remainder_z
      - .offset:         56
        .size:           8
        .value_kind:     hidden_global_offset_x
      - .offset:         64
        .size:           8
        .value_kind:     hidden_global_offset_y
      - .offset:         72
        .size:           8
        .value_kind:     hidden_global_offset_z
      - .offset:         80
        .size:           2
        .value_kind:     hidden_grid_dims
    .group_segment_fixed_size: 252
    .kernarg_segment_align: 8
    .kernarg_segment_size: 272
    .language:       OpenCL C
    .language_version:
      - 2
      - 0
    .max_flat_workgroup_size: 63
    .name:           _Z18warp_reduce_kernelIiLj63ELj3EENSt9enable_ifIXsr10test_utilsE35device_test_enabled_for_warp_size_vIXT1_EEEvE4typeEPT_S4_
    .private_segment_fixed_size: 0
    .sgpr_count:     18
    .sgpr_spill_count: 0
    .symbol:         _Z18warp_reduce_kernelIiLj63ELj3EENSt9enable_ifIXsr10test_utilsE35device_test_enabled_for_warp_size_vIXT1_EEEvE4typeEPT_S4_.kd
    .uniform_work_group_size: 1
    .uses_dynamic_stack: false
    .vgpr_count:     7
    .vgpr_spill_count: 0
    .wavefront_size: 32
    .workgroup_processor_mode: 1
  - .args:
      - .address_space:  global
        .offset:         0
        .size:           8
        .value_kind:     global_buffer
      - .address_space:  global
        .offset:         8
        .size:           8
        .value_kind:     global_buffer
    .group_segment_fixed_size: 0
    .kernarg_segment_align: 8
    .kernarg_segment_size: 16
    .language:       OpenCL C
    .language_version:
      - 2
      - 0
    .max_flat_workgroup_size: 256
    .name:           _Z18warp_reduce_kernelI12hip_bfloat16Lj256ELj64EENSt9enable_ifIXntsr10test_utilsE35device_test_enabled_for_warp_size_vIXT1_EEEvE4typeEPT_S5_
    .private_segment_fixed_size: 0
    .sgpr_count:     0
    .sgpr_spill_count: 0
    .symbol:         _Z18warp_reduce_kernelI12hip_bfloat16Lj256ELj64EENSt9enable_ifIXntsr10test_utilsE35device_test_enabled_for_warp_size_vIXT1_EEEvE4typeEPT_S5_.kd
    .uniform_work_group_size: 1
    .uses_dynamic_stack: false
    .vgpr_count:     0
    .vgpr_spill_count: 0
    .wavefront_size: 32
    .workgroup_processor_mode: 1
  - .args:
      - .address_space:  global
        .offset:         0
        .size:           8
        .value_kind:     global_buffer
      - .address_space:  global
        .offset:         8
        .size:           8
        .value_kind:     global_buffer
      - .offset:         16
        .size:           4
        .value_kind:     hidden_block_count_x
      - .offset:         20
        .size:           4
        .value_kind:     hidden_block_count_y
      - .offset:         24
        .size:           4
        .value_kind:     hidden_block_count_z
      - .offset:         28
        .size:           2
        .value_kind:     hidden_group_size_x
      - .offset:         30
        .size:           2
        .value_kind:     hidden_group_size_y
      - .offset:         32
        .size:           2
        .value_kind:     hidden_group_size_z
      - .offset:         34
        .size:           2
        .value_kind:     hidden_remainder_x
      - .offset:         36
        .size:           2
        .value_kind:     hidden_remainder_y
      - .offset:         38
        .size:           2
        .value_kind:     hidden_remainder_z
      - .offset:         56
        .size:           8
        .value_kind:     hidden_global_offset_x
      - .offset:         64
        .size:           8
        .value_kind:     hidden_global_offset_y
      - .offset:         72
        .size:           8
        .value_kind:     hidden_global_offset_z
      - .offset:         80
        .size:           2
        .value_kind:     hidden_grid_dims
    .group_segment_fixed_size: 0
    .kernarg_segment_align: 8
    .kernarg_segment_size: 272
    .language:       OpenCL C
    .language_version:
      - 2
      - 0
    .max_flat_workgroup_size: 128
    .name:           _Z18warp_reduce_kernelI12hip_bfloat16Lj128ELj32EENSt9enable_ifIXsr10test_utilsE35device_test_enabled_for_warp_size_vIXT1_EEEvE4typeEPT_S5_
    .private_segment_fixed_size: 0
    .sgpr_count:     18
    .sgpr_spill_count: 0
    .symbol:         _Z18warp_reduce_kernelI12hip_bfloat16Lj128ELj32EENSt9enable_ifIXsr10test_utilsE35device_test_enabled_for_warp_size_vIXT1_EEEvE4typeEPT_S5_.kd
    .uniform_work_group_size: 1
    .uses_dynamic_stack: false
    .vgpr_count:     5
    .vgpr_spill_count: 0
    .wavefront_size: 32
    .workgroup_processor_mode: 1
  - .args:
      - .address_space:  global
        .offset:         0
        .size:           8
        .value_kind:     global_buffer
      - .address_space:  global
        .offset:         8
        .size:           8
        .value_kind:     global_buffer
      - .offset:         16
        .size:           4
        .value_kind:     hidden_block_count_x
      - .offset:         20
        .size:           4
        .value_kind:     hidden_block_count_y
      - .offset:         24
        .size:           4
        .value_kind:     hidden_block_count_z
      - .offset:         28
        .size:           2
        .value_kind:     hidden_group_size_x
      - .offset:         30
        .size:           2
        .value_kind:     hidden_group_size_y
      - .offset:         32
        .size:           2
        .value_kind:     hidden_group_size_z
      - .offset:         34
        .size:           2
        .value_kind:     hidden_remainder_x
      - .offset:         36
        .size:           2
        .value_kind:     hidden_remainder_y
      - .offset:         38
        .size:           2
        .value_kind:     hidden_remainder_z
      - .offset:         56
        .size:           8
        .value_kind:     hidden_global_offset_x
      - .offset:         64
        .size:           8
        .value_kind:     hidden_global_offset_y
      - .offset:         72
        .size:           8
        .value_kind:     hidden_global_offset_z
      - .offset:         80
        .size:           2
        .value_kind:     hidden_grid_dims
    .group_segment_fixed_size: 0
    .kernarg_segment_align: 8
    .kernarg_segment_size: 272
    .language:       OpenCL C
    .language_version:
      - 2
      - 0
    .max_flat_workgroup_size: 64
    .name:           _Z18warp_reduce_kernelI12hip_bfloat16Lj64ELj16EENSt9enable_ifIXsr10test_utilsE35device_test_enabled_for_warp_size_vIXT1_EEEvE4typeEPT_S5_
    .private_segment_fixed_size: 0
    .sgpr_count:     18
    .sgpr_spill_count: 0
    .symbol:         _Z18warp_reduce_kernelI12hip_bfloat16Lj64ELj16EENSt9enable_ifIXsr10test_utilsE35device_test_enabled_for_warp_size_vIXT1_EEEvE4typeEPT_S5_.kd
    .uniform_work_group_size: 1
    .uses_dynamic_stack: false
    .vgpr_count:     7
    .vgpr_spill_count: 0
    .wavefront_size: 32
    .workgroup_processor_mode: 1
  - .args:
      - .address_space:  global
        .offset:         0
        .size:           8
        .value_kind:     global_buffer
      - .address_space:  global
        .offset:         8
        .size:           8
        .value_kind:     global_buffer
      - .offset:         16
        .size:           4
        .value_kind:     hidden_block_count_x
      - .offset:         20
        .size:           4
        .value_kind:     hidden_block_count_y
      - .offset:         24
        .size:           4
        .value_kind:     hidden_block_count_z
      - .offset:         28
        .size:           2
        .value_kind:     hidden_group_size_x
      - .offset:         30
        .size:           2
        .value_kind:     hidden_group_size_y
      - .offset:         32
        .size:           2
        .value_kind:     hidden_group_size_z
      - .offset:         34
        .size:           2
        .value_kind:     hidden_remainder_x
      - .offset:         36
        .size:           2
        .value_kind:     hidden_remainder_y
      - .offset:         38
        .size:           2
        .value_kind:     hidden_remainder_z
      - .offset:         56
        .size:           8
        .value_kind:     hidden_global_offset_x
      - .offset:         64
        .size:           8
        .value_kind:     hidden_global_offset_y
      - .offset:         72
        .size:           8
        .value_kind:     hidden_global_offset_z
      - .offset:         80
        .size:           2
        .value_kind:     hidden_grid_dims
    .group_segment_fixed_size: 0
    .kernarg_segment_align: 8
    .kernarg_segment_size: 272
    .language:       OpenCL C
    .language_version:
      - 2
      - 0
    .max_flat_workgroup_size: 32
    .name:           _Z18warp_reduce_kernelI12hip_bfloat16Lj32ELj8EENSt9enable_ifIXsr10test_utilsE35device_test_enabled_for_warp_size_vIXT1_EEEvE4typeEPT_S5_
    .private_segment_fixed_size: 0
    .sgpr_count:     18
    .sgpr_spill_count: 0
    .symbol:         _Z18warp_reduce_kernelI12hip_bfloat16Lj32ELj8EENSt9enable_ifIXsr10test_utilsE35device_test_enabled_for_warp_size_vIXT1_EEEvE4typeEPT_S5_.kd
    .uniform_work_group_size: 1
    .uses_dynamic_stack: false
    .vgpr_count:     7
    .vgpr_spill_count: 0
    .wavefront_size: 32
    .workgroup_processor_mode: 1
  - .args:
      - .address_space:  global
        .offset:         0
        .size:           8
        .value_kind:     global_buffer
      - .address_space:  global
        .offset:         8
        .size:           8
        .value_kind:     global_buffer
      - .offset:         16
        .size:           4
        .value_kind:     hidden_block_count_x
      - .offset:         20
        .size:           4
        .value_kind:     hidden_block_count_y
      - .offset:         24
        .size:           4
        .value_kind:     hidden_block_count_z
      - .offset:         28
        .size:           2
        .value_kind:     hidden_group_size_x
      - .offset:         30
        .size:           2
        .value_kind:     hidden_group_size_y
      - .offset:         32
        .size:           2
        .value_kind:     hidden_group_size_z
      - .offset:         34
        .size:           2
        .value_kind:     hidden_remainder_x
      - .offset:         36
        .size:           2
        .value_kind:     hidden_remainder_y
      - .offset:         38
        .size:           2
        .value_kind:     hidden_remainder_z
      - .offset:         56
        .size:           8
        .value_kind:     hidden_global_offset_x
      - .offset:         64
        .size:           8
        .value_kind:     hidden_global_offset_y
      - .offset:         72
        .size:           8
        .value_kind:     hidden_global_offset_z
      - .offset:         80
        .size:           2
        .value_kind:     hidden_grid_dims
    .group_segment_fixed_size: 0
    .kernarg_segment_align: 8
    .kernarg_segment_size: 272
    .language:       OpenCL C
    .language_version:
      - 2
      - 0
    .max_flat_workgroup_size: 64
    .name:           _Z18warp_reduce_kernelI12hip_bfloat16Lj64ELj8EENSt9enable_ifIXsr10test_utilsE35device_test_enabled_for_warp_size_vIXT1_EEEvE4typeEPT_S5_
    .private_segment_fixed_size: 0
    .sgpr_count:     18
    .sgpr_spill_count: 0
    .symbol:         _Z18warp_reduce_kernelI12hip_bfloat16Lj64ELj8EENSt9enable_ifIXsr10test_utilsE35device_test_enabled_for_warp_size_vIXT1_EEEvE4typeEPT_S5_.kd
    .uniform_work_group_size: 1
    .uses_dynamic_stack: false
    .vgpr_count:     7
    .vgpr_spill_count: 0
    .wavefront_size: 32
    .workgroup_processor_mode: 1
  - .args:
      - .address_space:  global
        .offset:         0
        .size:           8
        .value_kind:     global_buffer
      - .address_space:  global
        .offset:         8
        .size:           8
        .value_kind:     global_buffer
      - .offset:         16
        .size:           4
        .value_kind:     hidden_block_count_x
      - .offset:         20
        .size:           4
        .value_kind:     hidden_block_count_y
      - .offset:         24
        .size:           4
        .value_kind:     hidden_block_count_z
      - .offset:         28
        .size:           2
        .value_kind:     hidden_group_size_x
      - .offset:         30
        .size:           2
        .value_kind:     hidden_group_size_y
      - .offset:         32
        .size:           2
        .value_kind:     hidden_group_size_z
      - .offset:         34
        .size:           2
        .value_kind:     hidden_remainder_x
      - .offset:         36
        .size:           2
        .value_kind:     hidden_remainder_y
      - .offset:         38
        .size:           2
        .value_kind:     hidden_remainder_z
      - .offset:         56
        .size:           8
        .value_kind:     hidden_global_offset_x
      - .offset:         64
        .size:           8
        .value_kind:     hidden_global_offset_y
      - .offset:         72
        .size:           8
        .value_kind:     hidden_global_offset_z
      - .offset:         80
        .size:           2
        .value_kind:     hidden_grid_dims
    .group_segment_fixed_size: 0
    .kernarg_segment_align: 8
    .kernarg_segment_size: 272
    .language:       OpenCL C
    .language_version:
      - 2
      - 0
    .max_flat_workgroup_size: 32
    .name:           _Z18warp_reduce_kernelI12hip_bfloat16Lj32ELj4EENSt9enable_ifIXsr10test_utilsE35device_test_enabled_for_warp_size_vIXT1_EEEvE4typeEPT_S5_
    .private_segment_fixed_size: 0
    .sgpr_count:     18
    .sgpr_spill_count: 0
    .symbol:         _Z18warp_reduce_kernelI12hip_bfloat16Lj32ELj4EENSt9enable_ifIXsr10test_utilsE35device_test_enabled_for_warp_size_vIXT1_EEEvE4typeEPT_S5_.kd
    .uniform_work_group_size: 1
    .uses_dynamic_stack: false
    .vgpr_count:     7
    .vgpr_spill_count: 0
    .wavefront_size: 32
    .workgroup_processor_mode: 1
  - .args:
      - .address_space:  global
        .offset:         0
        .size:           8
        .value_kind:     global_buffer
      - .address_space:  global
        .offset:         8
        .size:           8
        .value_kind:     global_buffer
      - .offset:         16
        .size:           4
        .value_kind:     hidden_block_count_x
      - .offset:         20
        .size:           4
        .value_kind:     hidden_block_count_y
      - .offset:         24
        .size:           4
        .value_kind:     hidden_block_count_z
      - .offset:         28
        .size:           2
        .value_kind:     hidden_group_size_x
      - .offset:         30
        .size:           2
        .value_kind:     hidden_group_size_y
      - .offset:         32
        .size:           2
        .value_kind:     hidden_group_size_z
      - .offset:         34
        .size:           2
        .value_kind:     hidden_remainder_x
      - .offset:         36
        .size:           2
        .value_kind:     hidden_remainder_y
      - .offset:         38
        .size:           2
        .value_kind:     hidden_remainder_z
      - .offset:         56
        .size:           8
        .value_kind:     hidden_global_offset_x
      - .offset:         64
        .size:           8
        .value_kind:     hidden_global_offset_y
      - .offset:         72
        .size:           8
        .value_kind:     hidden_global_offset_z
      - .offset:         80
        .size:           2
        .value_kind:     hidden_grid_dims
    .group_segment_fixed_size: 0
    .kernarg_segment_align: 8
    .kernarg_segment_size: 272
    .language:       OpenCL C
    .language_version:
      - 2
      - 0
    .max_flat_workgroup_size: 64
    .name:           _Z18warp_reduce_kernelI12hip_bfloat16Lj64ELj4EENSt9enable_ifIXsr10test_utilsE35device_test_enabled_for_warp_size_vIXT1_EEEvE4typeEPT_S5_
    .private_segment_fixed_size: 0
    .sgpr_count:     18
    .sgpr_spill_count: 0
    .symbol:         _Z18warp_reduce_kernelI12hip_bfloat16Lj64ELj4EENSt9enable_ifIXsr10test_utilsE35device_test_enabled_for_warp_size_vIXT1_EEEvE4typeEPT_S5_.kd
    .uniform_work_group_size: 1
    .uses_dynamic_stack: false
    .vgpr_count:     7
    .vgpr_spill_count: 0
    .wavefront_size: 32
    .workgroup_processor_mode: 1
  - .args:
      - .address_space:  global
        .offset:         0
        .size:           8
        .value_kind:     global_buffer
      - .address_space:  global
        .offset:         8
        .size:           8
        .value_kind:     global_buffer
      - .offset:         16
        .size:           4
        .value_kind:     hidden_block_count_x
      - .offset:         20
        .size:           4
        .value_kind:     hidden_block_count_y
      - .offset:         24
        .size:           4
        .value_kind:     hidden_block_count_z
      - .offset:         28
        .size:           2
        .value_kind:     hidden_group_size_x
      - .offset:         30
        .size:           2
        .value_kind:     hidden_group_size_y
      - .offset:         32
        .size:           2
        .value_kind:     hidden_group_size_z
      - .offset:         34
        .size:           2
        .value_kind:     hidden_remainder_x
      - .offset:         36
        .size:           2
        .value_kind:     hidden_remainder_y
      - .offset:         38
        .size:           2
        .value_kind:     hidden_remainder_z
      - .offset:         56
        .size:           8
        .value_kind:     hidden_global_offset_x
      - .offset:         64
        .size:           8
        .value_kind:     hidden_global_offset_y
      - .offset:         72
        .size:           8
        .value_kind:     hidden_global_offset_z
      - .offset:         80
        .size:           2
        .value_kind:     hidden_grid_dims
    .group_segment_fixed_size: 0
    .kernarg_segment_align: 8
    .kernarg_segment_size: 272
    .language:       OpenCL C
    .language_version:
      - 2
      - 0
    .max_flat_workgroup_size: 32
    .name:           _Z18warp_reduce_kernelI12hip_bfloat16Lj32ELj2EENSt9enable_ifIXsr10test_utilsE35device_test_enabled_for_warp_size_vIXT1_EEEvE4typeEPT_S5_
    .private_segment_fixed_size: 0
    .sgpr_count:     18
    .sgpr_spill_count: 0
    .symbol:         _Z18warp_reduce_kernelI12hip_bfloat16Lj32ELj2EENSt9enable_ifIXsr10test_utilsE35device_test_enabled_for_warp_size_vIXT1_EEEvE4typeEPT_S5_.kd
    .uniform_work_group_size: 1
    .uses_dynamic_stack: false
    .vgpr_count:     5
    .vgpr_spill_count: 0
    .wavefront_size: 32
    .workgroup_processor_mode: 1
  - .args:
      - .address_space:  global
        .offset:         0
        .size:           8
        .value_kind:     global_buffer
      - .address_space:  global
        .offset:         8
        .size:           8
        .value_kind:     global_buffer
      - .offset:         16
        .size:           4
        .value_kind:     hidden_block_count_x
      - .offset:         20
        .size:           4
        .value_kind:     hidden_block_count_y
      - .offset:         24
        .size:           4
        .value_kind:     hidden_block_count_z
      - .offset:         28
        .size:           2
        .value_kind:     hidden_group_size_x
      - .offset:         30
        .size:           2
        .value_kind:     hidden_group_size_y
      - .offset:         32
        .size:           2
        .value_kind:     hidden_group_size_z
      - .offset:         34
        .size:           2
        .value_kind:     hidden_remainder_x
      - .offset:         36
        .size:           2
        .value_kind:     hidden_remainder_y
      - .offset:         38
        .size:           2
        .value_kind:     hidden_remainder_z
      - .offset:         56
        .size:           8
        .value_kind:     hidden_global_offset_x
      - .offset:         64
        .size:           8
        .value_kind:     hidden_global_offset_y
      - .offset:         72
        .size:           8
        .value_kind:     hidden_global_offset_z
      - .offset:         80
        .size:           2
        .value_kind:     hidden_grid_dims
    .group_segment_fixed_size: 0
    .kernarg_segment_align: 8
    .kernarg_segment_size: 272
    .language:       OpenCL C
    .language_version:
      - 2
      - 0
    .max_flat_workgroup_size: 64
    .name:           _Z18warp_reduce_kernelI12hip_bfloat16Lj64ELj2EENSt9enable_ifIXsr10test_utilsE35device_test_enabled_for_warp_size_vIXT1_EEEvE4typeEPT_S5_
    .private_segment_fixed_size: 0
    .sgpr_count:     18
    .sgpr_spill_count: 0
    .symbol:         _Z18warp_reduce_kernelI12hip_bfloat16Lj64ELj2EENSt9enable_ifIXsr10test_utilsE35device_test_enabled_for_warp_size_vIXT1_EEEvE4typeEPT_S5_.kd
    .uniform_work_group_size: 1
    .uses_dynamic_stack: false
    .vgpr_count:     5
    .vgpr_spill_count: 0
    .wavefront_size: 32
    .workgroup_processor_mode: 1
  - .args:
      - .address_space:  global
        .offset:         0
        .size:           8
        .value_kind:     global_buffer
      - .address_space:  global
        .offset:         8
        .size:           8
        .value_kind:     global_buffer
      - .offset:         16
        .size:           4
        .value_kind:     hidden_block_count_x
      - .offset:         20
        .size:           4
        .value_kind:     hidden_block_count_y
      - .offset:         24
        .size:           4
        .value_kind:     hidden_block_count_z
      - .offset:         28
        .size:           2
        .value_kind:     hidden_group_size_x
      - .offset:         30
        .size:           2
        .value_kind:     hidden_group_size_y
      - .offset:         32
        .size:           2
        .value_kind:     hidden_group_size_z
      - .offset:         34
        .size:           2
        .value_kind:     hidden_remainder_x
      - .offset:         36
        .size:           2
        .value_kind:     hidden_remainder_y
      - .offset:         38
        .size:           2
        .value_kind:     hidden_remainder_z
      - .offset:         56
        .size:           8
        .value_kind:     hidden_global_offset_x
      - .offset:         64
        .size:           8
        .value_kind:     hidden_global_offset_y
      - .offset:         72
        .size:           8
        .value_kind:     hidden_global_offset_z
      - .offset:         80
        .size:           2
        .value_kind:     hidden_grid_dims
    .group_segment_fixed_size: 0
    .kernarg_segment_align: 8
    .kernarg_segment_size: 272
    .language:       OpenCL C
    .language_version:
      - 2
      - 0
    .max_flat_workgroup_size: 32
    .name:           _Z18warp_reduce_kernelI12hip_bfloat16Lj32ELj1EENSt9enable_ifIXsr10test_utilsE35device_test_enabled_for_warp_size_vIXT1_EEEvE4typeEPT_S5_
    .private_segment_fixed_size: 0
    .sgpr_count:     18
    .sgpr_spill_count: 0
    .symbol:         _Z18warp_reduce_kernelI12hip_bfloat16Lj32ELj1EENSt9enable_ifIXsr10test_utilsE35device_test_enabled_for_warp_size_vIXT1_EEEvE4typeEPT_S5_.kd
    .uniform_work_group_size: 1
    .uses_dynamic_stack: false
    .vgpr_count:     4
    .vgpr_spill_count: 0
    .wavefront_size: 32
    .workgroup_processor_mode: 1
  - .args:
      - .address_space:  global
        .offset:         0
        .size:           8
        .value_kind:     global_buffer
      - .address_space:  global
        .offset:         8
        .size:           8
        .value_kind:     global_buffer
      - .offset:         16
        .size:           4
        .value_kind:     hidden_block_count_x
      - .offset:         20
        .size:           4
        .value_kind:     hidden_block_count_y
      - .offset:         24
        .size:           4
        .value_kind:     hidden_block_count_z
      - .offset:         28
        .size:           2
        .value_kind:     hidden_group_size_x
      - .offset:         30
        .size:           2
        .value_kind:     hidden_group_size_y
      - .offset:         32
        .size:           2
        .value_kind:     hidden_group_size_z
      - .offset:         34
        .size:           2
        .value_kind:     hidden_remainder_x
      - .offset:         36
        .size:           2
        .value_kind:     hidden_remainder_y
      - .offset:         38
        .size:           2
        .value_kind:     hidden_remainder_z
      - .offset:         56
        .size:           8
        .value_kind:     hidden_global_offset_x
      - .offset:         64
        .size:           8
        .value_kind:     hidden_global_offset_y
      - .offset:         72
        .size:           8
        .value_kind:     hidden_global_offset_z
      - .offset:         80
        .size:           2
        .value_kind:     hidden_grid_dims
    .group_segment_fixed_size: 0
    .kernarg_segment_align: 8
    .kernarg_segment_size: 272
    .language:       OpenCL C
    .language_version:
      - 2
      - 0
    .max_flat_workgroup_size: 64
    .name:           _Z18warp_reduce_kernelI12hip_bfloat16Lj64ELj1EENSt9enable_ifIXsr10test_utilsE35device_test_enabled_for_warp_size_vIXT1_EEEvE4typeEPT_S5_
    .private_segment_fixed_size: 0
    .sgpr_count:     18
    .sgpr_spill_count: 0
    .symbol:         _Z18warp_reduce_kernelI12hip_bfloat16Lj64ELj1EENSt9enable_ifIXsr10test_utilsE35device_test_enabled_for_warp_size_vIXT1_EEEvE4typeEPT_S5_.kd
    .uniform_work_group_size: 1
    .uses_dynamic_stack: false
    .vgpr_count:     4
    .vgpr_spill_count: 0
    .wavefront_size: 32
    .workgroup_processor_mode: 1
  - .args:
      - .address_space:  global
        .offset:         0
        .size:           8
        .value_kind:     global_buffer
      - .address_space:  global
        .offset:         8
        .size:           8
        .value_kind:     global_buffer
    .group_segment_fixed_size: 0
    .kernarg_segment_align: 8
    .kernarg_segment_size: 16
    .language:       OpenCL C
    .language_version:
      - 2
      - 0
    .max_flat_workgroup_size: 256
    .name:           _Z18warp_reduce_kernelI6__halfLj256ELj64EENSt9enable_ifIXntsr10test_utilsE35device_test_enabled_for_warp_size_vIXT1_EEEvE4typeEPT_S5_
    .private_segment_fixed_size: 0
    .sgpr_count:     0
    .sgpr_spill_count: 0
    .symbol:         _Z18warp_reduce_kernelI6__halfLj256ELj64EENSt9enable_ifIXntsr10test_utilsE35device_test_enabled_for_warp_size_vIXT1_EEEvE4typeEPT_S5_.kd
    .uniform_work_group_size: 1
    .uses_dynamic_stack: false
    .vgpr_count:     0
    .vgpr_spill_count: 0
    .wavefront_size: 32
    .workgroup_processor_mode: 1
  - .args:
      - .address_space:  global
        .offset:         0
        .size:           8
        .value_kind:     global_buffer
      - .address_space:  global
        .offset:         8
        .size:           8
        .value_kind:     global_buffer
      - .offset:         16
        .size:           4
        .value_kind:     hidden_block_count_x
      - .offset:         20
        .size:           4
        .value_kind:     hidden_block_count_y
      - .offset:         24
        .size:           4
        .value_kind:     hidden_block_count_z
      - .offset:         28
        .size:           2
        .value_kind:     hidden_group_size_x
      - .offset:         30
        .size:           2
        .value_kind:     hidden_group_size_y
      - .offset:         32
        .size:           2
        .value_kind:     hidden_group_size_z
      - .offset:         34
        .size:           2
        .value_kind:     hidden_remainder_x
      - .offset:         36
        .size:           2
        .value_kind:     hidden_remainder_y
      - .offset:         38
        .size:           2
        .value_kind:     hidden_remainder_z
      - .offset:         56
        .size:           8
        .value_kind:     hidden_global_offset_x
      - .offset:         64
        .size:           8
        .value_kind:     hidden_global_offset_y
      - .offset:         72
        .size:           8
        .value_kind:     hidden_global_offset_z
      - .offset:         80
        .size:           2
        .value_kind:     hidden_grid_dims
    .group_segment_fixed_size: 0
    .kernarg_segment_align: 8
    .kernarg_segment_size: 272
    .language:       OpenCL C
    .language_version:
      - 2
      - 0
    .max_flat_workgroup_size: 128
    .name:           _Z18warp_reduce_kernelI6__halfLj128ELj32EENSt9enable_ifIXsr10test_utilsE35device_test_enabled_for_warp_size_vIXT1_EEEvE4typeEPT_S5_
    .private_segment_fixed_size: 0
    .sgpr_count:     18
    .sgpr_spill_count: 0
    .symbol:         _Z18warp_reduce_kernelI6__halfLj128ELj32EENSt9enable_ifIXsr10test_utilsE35device_test_enabled_for_warp_size_vIXT1_EEEvE4typeEPT_S5_.kd
    .uniform_work_group_size: 1
    .uses_dynamic_stack: false
    .vgpr_count:     5
    .vgpr_spill_count: 0
    .wavefront_size: 32
    .workgroup_processor_mode: 1
  - .args:
      - .address_space:  global
        .offset:         0
        .size:           8
        .value_kind:     global_buffer
      - .address_space:  global
        .offset:         8
        .size:           8
        .value_kind:     global_buffer
      - .offset:         16
        .size:           4
        .value_kind:     hidden_block_count_x
      - .offset:         20
        .size:           4
        .value_kind:     hidden_block_count_y
      - .offset:         24
        .size:           4
        .value_kind:     hidden_block_count_z
      - .offset:         28
        .size:           2
        .value_kind:     hidden_group_size_x
      - .offset:         30
        .size:           2
        .value_kind:     hidden_group_size_y
      - .offset:         32
        .size:           2
        .value_kind:     hidden_group_size_z
      - .offset:         34
        .size:           2
        .value_kind:     hidden_remainder_x
      - .offset:         36
        .size:           2
        .value_kind:     hidden_remainder_y
      - .offset:         38
        .size:           2
        .value_kind:     hidden_remainder_z
      - .offset:         56
        .size:           8
        .value_kind:     hidden_global_offset_x
      - .offset:         64
        .size:           8
        .value_kind:     hidden_global_offset_y
      - .offset:         72
        .size:           8
        .value_kind:     hidden_global_offset_z
      - .offset:         80
        .size:           2
        .value_kind:     hidden_grid_dims
    .group_segment_fixed_size: 0
    .kernarg_segment_align: 8
    .kernarg_segment_size: 272
    .language:       OpenCL C
    .language_version:
      - 2
      - 0
    .max_flat_workgroup_size: 64
    .name:           _Z18warp_reduce_kernelI6__halfLj64ELj16EENSt9enable_ifIXsr10test_utilsE35device_test_enabled_for_warp_size_vIXT1_EEEvE4typeEPT_S5_
    .private_segment_fixed_size: 0
    .sgpr_count:     18
    .sgpr_spill_count: 0
    .symbol:         _Z18warp_reduce_kernelI6__halfLj64ELj16EENSt9enable_ifIXsr10test_utilsE35device_test_enabled_for_warp_size_vIXT1_EEEvE4typeEPT_S5_.kd
    .uniform_work_group_size: 1
    .uses_dynamic_stack: false
    .vgpr_count:     7
    .vgpr_spill_count: 0
    .wavefront_size: 32
    .workgroup_processor_mode: 1
  - .args:
      - .address_space:  global
        .offset:         0
        .size:           8
        .value_kind:     global_buffer
      - .address_space:  global
        .offset:         8
        .size:           8
        .value_kind:     global_buffer
      - .offset:         16
        .size:           4
        .value_kind:     hidden_block_count_x
      - .offset:         20
        .size:           4
        .value_kind:     hidden_block_count_y
      - .offset:         24
        .size:           4
        .value_kind:     hidden_block_count_z
      - .offset:         28
        .size:           2
        .value_kind:     hidden_group_size_x
      - .offset:         30
        .size:           2
        .value_kind:     hidden_group_size_y
      - .offset:         32
        .size:           2
        .value_kind:     hidden_group_size_z
      - .offset:         34
        .size:           2
        .value_kind:     hidden_remainder_x
      - .offset:         36
        .size:           2
        .value_kind:     hidden_remainder_y
      - .offset:         38
        .size:           2
        .value_kind:     hidden_remainder_z
      - .offset:         56
        .size:           8
        .value_kind:     hidden_global_offset_x
      - .offset:         64
        .size:           8
        .value_kind:     hidden_global_offset_y
      - .offset:         72
        .size:           8
        .value_kind:     hidden_global_offset_z
      - .offset:         80
        .size:           2
        .value_kind:     hidden_grid_dims
    .group_segment_fixed_size: 0
    .kernarg_segment_align: 8
    .kernarg_segment_size: 272
    .language:       OpenCL C
    .language_version:
      - 2
      - 0
    .max_flat_workgroup_size: 32
    .name:           _Z18warp_reduce_kernelI6__halfLj32ELj8EENSt9enable_ifIXsr10test_utilsE35device_test_enabled_for_warp_size_vIXT1_EEEvE4typeEPT_S5_
    .private_segment_fixed_size: 0
    .sgpr_count:     18
    .sgpr_spill_count: 0
    .symbol:         _Z18warp_reduce_kernelI6__halfLj32ELj8EENSt9enable_ifIXsr10test_utilsE35device_test_enabled_for_warp_size_vIXT1_EEEvE4typeEPT_S5_.kd
    .uniform_work_group_size: 1
    .uses_dynamic_stack: false
    .vgpr_count:     7
    .vgpr_spill_count: 0
    .wavefront_size: 32
    .workgroup_processor_mode: 1
  - .args:
      - .address_space:  global
        .offset:         0
        .size:           8
        .value_kind:     global_buffer
      - .address_space:  global
        .offset:         8
        .size:           8
        .value_kind:     global_buffer
      - .offset:         16
        .size:           4
        .value_kind:     hidden_block_count_x
      - .offset:         20
        .size:           4
        .value_kind:     hidden_block_count_y
      - .offset:         24
        .size:           4
        .value_kind:     hidden_block_count_z
      - .offset:         28
        .size:           2
        .value_kind:     hidden_group_size_x
      - .offset:         30
        .size:           2
        .value_kind:     hidden_group_size_y
      - .offset:         32
        .size:           2
        .value_kind:     hidden_group_size_z
      - .offset:         34
        .size:           2
        .value_kind:     hidden_remainder_x
      - .offset:         36
        .size:           2
        .value_kind:     hidden_remainder_y
      - .offset:         38
        .size:           2
        .value_kind:     hidden_remainder_z
      - .offset:         56
        .size:           8
        .value_kind:     hidden_global_offset_x
      - .offset:         64
        .size:           8
        .value_kind:     hidden_global_offset_y
      - .offset:         72
        .size:           8
        .value_kind:     hidden_global_offset_z
      - .offset:         80
        .size:           2
        .value_kind:     hidden_grid_dims
    .group_segment_fixed_size: 0
    .kernarg_segment_align: 8
    .kernarg_segment_size: 272
    .language:       OpenCL C
    .language_version:
      - 2
      - 0
    .max_flat_workgroup_size: 64
    .name:           _Z18warp_reduce_kernelI6__halfLj64ELj8EENSt9enable_ifIXsr10test_utilsE35device_test_enabled_for_warp_size_vIXT1_EEEvE4typeEPT_S5_
    .private_segment_fixed_size: 0
    .sgpr_count:     18
    .sgpr_spill_count: 0
    .symbol:         _Z18warp_reduce_kernelI6__halfLj64ELj8EENSt9enable_ifIXsr10test_utilsE35device_test_enabled_for_warp_size_vIXT1_EEEvE4typeEPT_S5_.kd
    .uniform_work_group_size: 1
    .uses_dynamic_stack: false
    .vgpr_count:     7
    .vgpr_spill_count: 0
    .wavefront_size: 32
    .workgroup_processor_mode: 1
  - .args:
      - .address_space:  global
        .offset:         0
        .size:           8
        .value_kind:     global_buffer
      - .address_space:  global
        .offset:         8
        .size:           8
        .value_kind:     global_buffer
      - .offset:         16
        .size:           4
        .value_kind:     hidden_block_count_x
      - .offset:         20
        .size:           4
        .value_kind:     hidden_block_count_y
      - .offset:         24
        .size:           4
        .value_kind:     hidden_block_count_z
      - .offset:         28
        .size:           2
        .value_kind:     hidden_group_size_x
      - .offset:         30
        .size:           2
        .value_kind:     hidden_group_size_y
      - .offset:         32
        .size:           2
        .value_kind:     hidden_group_size_z
      - .offset:         34
        .size:           2
        .value_kind:     hidden_remainder_x
      - .offset:         36
        .size:           2
        .value_kind:     hidden_remainder_y
      - .offset:         38
        .size:           2
        .value_kind:     hidden_remainder_z
      - .offset:         56
        .size:           8
        .value_kind:     hidden_global_offset_x
      - .offset:         64
        .size:           8
        .value_kind:     hidden_global_offset_y
      - .offset:         72
        .size:           8
        .value_kind:     hidden_global_offset_z
      - .offset:         80
        .size:           2
        .value_kind:     hidden_grid_dims
    .group_segment_fixed_size: 0
    .kernarg_segment_align: 8
    .kernarg_segment_size: 272
    .language:       OpenCL C
    .language_version:
      - 2
      - 0
    .max_flat_workgroup_size: 32
    .name:           _Z18warp_reduce_kernelI6__halfLj32ELj4EENSt9enable_ifIXsr10test_utilsE35device_test_enabled_for_warp_size_vIXT1_EEEvE4typeEPT_S5_
    .private_segment_fixed_size: 0
    .sgpr_count:     18
    .sgpr_spill_count: 0
    .symbol:         _Z18warp_reduce_kernelI6__halfLj32ELj4EENSt9enable_ifIXsr10test_utilsE35device_test_enabled_for_warp_size_vIXT1_EEEvE4typeEPT_S5_.kd
    .uniform_work_group_size: 1
    .uses_dynamic_stack: false
    .vgpr_count:     7
    .vgpr_spill_count: 0
    .wavefront_size: 32
    .workgroup_processor_mode: 1
  - .args:
      - .address_space:  global
        .offset:         0
        .size:           8
        .value_kind:     global_buffer
      - .address_space:  global
        .offset:         8
        .size:           8
        .value_kind:     global_buffer
      - .offset:         16
        .size:           4
        .value_kind:     hidden_block_count_x
      - .offset:         20
        .size:           4
        .value_kind:     hidden_block_count_y
      - .offset:         24
        .size:           4
        .value_kind:     hidden_block_count_z
      - .offset:         28
        .size:           2
        .value_kind:     hidden_group_size_x
      - .offset:         30
        .size:           2
        .value_kind:     hidden_group_size_y
      - .offset:         32
        .size:           2
        .value_kind:     hidden_group_size_z
      - .offset:         34
        .size:           2
        .value_kind:     hidden_remainder_x
      - .offset:         36
        .size:           2
        .value_kind:     hidden_remainder_y
      - .offset:         38
        .size:           2
        .value_kind:     hidden_remainder_z
      - .offset:         56
        .size:           8
        .value_kind:     hidden_global_offset_x
      - .offset:         64
        .size:           8
        .value_kind:     hidden_global_offset_y
      - .offset:         72
        .size:           8
        .value_kind:     hidden_global_offset_z
      - .offset:         80
        .size:           2
        .value_kind:     hidden_grid_dims
    .group_segment_fixed_size: 0
    .kernarg_segment_align: 8
    .kernarg_segment_size: 272
    .language:       OpenCL C
    .language_version:
      - 2
      - 0
    .max_flat_workgroup_size: 64
    .name:           _Z18warp_reduce_kernelI6__halfLj64ELj4EENSt9enable_ifIXsr10test_utilsE35device_test_enabled_for_warp_size_vIXT1_EEEvE4typeEPT_S5_
    .private_segment_fixed_size: 0
    .sgpr_count:     18
    .sgpr_spill_count: 0
    .symbol:         _Z18warp_reduce_kernelI6__halfLj64ELj4EENSt9enable_ifIXsr10test_utilsE35device_test_enabled_for_warp_size_vIXT1_EEEvE4typeEPT_S5_.kd
    .uniform_work_group_size: 1
    .uses_dynamic_stack: false
    .vgpr_count:     7
    .vgpr_spill_count: 0
    .wavefront_size: 32
    .workgroup_processor_mode: 1
  - .args:
      - .address_space:  global
        .offset:         0
        .size:           8
        .value_kind:     global_buffer
      - .address_space:  global
        .offset:         8
        .size:           8
        .value_kind:     global_buffer
      - .offset:         16
        .size:           4
        .value_kind:     hidden_block_count_x
      - .offset:         20
        .size:           4
        .value_kind:     hidden_block_count_y
      - .offset:         24
        .size:           4
        .value_kind:     hidden_block_count_z
      - .offset:         28
        .size:           2
        .value_kind:     hidden_group_size_x
      - .offset:         30
        .size:           2
        .value_kind:     hidden_group_size_y
      - .offset:         32
        .size:           2
        .value_kind:     hidden_group_size_z
      - .offset:         34
        .size:           2
        .value_kind:     hidden_remainder_x
      - .offset:         36
        .size:           2
        .value_kind:     hidden_remainder_y
      - .offset:         38
        .size:           2
        .value_kind:     hidden_remainder_z
      - .offset:         56
        .size:           8
        .value_kind:     hidden_global_offset_x
      - .offset:         64
        .size:           8
        .value_kind:     hidden_global_offset_y
      - .offset:         72
        .size:           8
        .value_kind:     hidden_global_offset_z
      - .offset:         80
        .size:           2
        .value_kind:     hidden_grid_dims
    .group_segment_fixed_size: 0
    .kernarg_segment_align: 8
    .kernarg_segment_size: 272
    .language:       OpenCL C
    .language_version:
      - 2
      - 0
    .max_flat_workgroup_size: 32
    .name:           _Z18warp_reduce_kernelI6__halfLj32ELj2EENSt9enable_ifIXsr10test_utilsE35device_test_enabled_for_warp_size_vIXT1_EEEvE4typeEPT_S5_
    .private_segment_fixed_size: 0
    .sgpr_count:     18
    .sgpr_spill_count: 0
    .symbol:         _Z18warp_reduce_kernelI6__halfLj32ELj2EENSt9enable_ifIXsr10test_utilsE35device_test_enabled_for_warp_size_vIXT1_EEEvE4typeEPT_S5_.kd
    .uniform_work_group_size: 1
    .uses_dynamic_stack: false
    .vgpr_count:     5
    .vgpr_spill_count: 0
    .wavefront_size: 32
    .workgroup_processor_mode: 1
  - .args:
      - .address_space:  global
        .offset:         0
        .size:           8
        .value_kind:     global_buffer
      - .address_space:  global
        .offset:         8
        .size:           8
        .value_kind:     global_buffer
      - .offset:         16
        .size:           4
        .value_kind:     hidden_block_count_x
      - .offset:         20
        .size:           4
        .value_kind:     hidden_block_count_y
      - .offset:         24
        .size:           4
        .value_kind:     hidden_block_count_z
      - .offset:         28
        .size:           2
        .value_kind:     hidden_group_size_x
      - .offset:         30
        .size:           2
        .value_kind:     hidden_group_size_y
      - .offset:         32
        .size:           2
        .value_kind:     hidden_group_size_z
      - .offset:         34
        .size:           2
        .value_kind:     hidden_remainder_x
      - .offset:         36
        .size:           2
        .value_kind:     hidden_remainder_y
      - .offset:         38
        .size:           2
        .value_kind:     hidden_remainder_z
      - .offset:         56
        .size:           8
        .value_kind:     hidden_global_offset_x
      - .offset:         64
        .size:           8
        .value_kind:     hidden_global_offset_y
      - .offset:         72
        .size:           8
        .value_kind:     hidden_global_offset_z
      - .offset:         80
        .size:           2
        .value_kind:     hidden_grid_dims
    .group_segment_fixed_size: 0
    .kernarg_segment_align: 8
    .kernarg_segment_size: 272
    .language:       OpenCL C
    .language_version:
      - 2
      - 0
    .max_flat_workgroup_size: 64
    .name:           _Z18warp_reduce_kernelI6__halfLj64ELj2EENSt9enable_ifIXsr10test_utilsE35device_test_enabled_for_warp_size_vIXT1_EEEvE4typeEPT_S5_
    .private_segment_fixed_size: 0
    .sgpr_count:     18
    .sgpr_spill_count: 0
    .symbol:         _Z18warp_reduce_kernelI6__halfLj64ELj2EENSt9enable_ifIXsr10test_utilsE35device_test_enabled_for_warp_size_vIXT1_EEEvE4typeEPT_S5_.kd
    .uniform_work_group_size: 1
    .uses_dynamic_stack: false
    .vgpr_count:     5
    .vgpr_spill_count: 0
    .wavefront_size: 32
    .workgroup_processor_mode: 1
  - .args:
      - .address_space:  global
        .offset:         0
        .size:           8
        .value_kind:     global_buffer
      - .address_space:  global
        .offset:         8
        .size:           8
        .value_kind:     global_buffer
      - .offset:         16
        .size:           4
        .value_kind:     hidden_block_count_x
      - .offset:         20
        .size:           4
        .value_kind:     hidden_block_count_y
      - .offset:         24
        .size:           4
        .value_kind:     hidden_block_count_z
      - .offset:         28
        .size:           2
        .value_kind:     hidden_group_size_x
      - .offset:         30
        .size:           2
        .value_kind:     hidden_group_size_y
      - .offset:         32
        .size:           2
        .value_kind:     hidden_group_size_z
      - .offset:         34
        .size:           2
        .value_kind:     hidden_remainder_x
      - .offset:         36
        .size:           2
        .value_kind:     hidden_remainder_y
      - .offset:         38
        .size:           2
        .value_kind:     hidden_remainder_z
      - .offset:         56
        .size:           8
        .value_kind:     hidden_global_offset_x
      - .offset:         64
        .size:           8
        .value_kind:     hidden_global_offset_y
      - .offset:         72
        .size:           8
        .value_kind:     hidden_global_offset_z
      - .offset:         80
        .size:           2
        .value_kind:     hidden_grid_dims
    .group_segment_fixed_size: 0
    .kernarg_segment_align: 8
    .kernarg_segment_size: 272
    .language:       OpenCL C
    .language_version:
      - 2
      - 0
    .max_flat_workgroup_size: 32
    .name:           _Z18warp_reduce_kernelI6__halfLj32ELj1EENSt9enable_ifIXsr10test_utilsE35device_test_enabled_for_warp_size_vIXT1_EEEvE4typeEPT_S5_
    .private_segment_fixed_size: 0
    .sgpr_count:     18
    .sgpr_spill_count: 0
    .symbol:         _Z18warp_reduce_kernelI6__halfLj32ELj1EENSt9enable_ifIXsr10test_utilsE35device_test_enabled_for_warp_size_vIXT1_EEEvE4typeEPT_S5_.kd
    .uniform_work_group_size: 1
    .uses_dynamic_stack: false
    .vgpr_count:     4
    .vgpr_spill_count: 0
    .wavefront_size: 32
    .workgroup_processor_mode: 1
  - .args:
      - .address_space:  global
        .offset:         0
        .size:           8
        .value_kind:     global_buffer
      - .address_space:  global
        .offset:         8
        .size:           8
        .value_kind:     global_buffer
      - .offset:         16
        .size:           4
        .value_kind:     hidden_block_count_x
      - .offset:         20
        .size:           4
        .value_kind:     hidden_block_count_y
      - .offset:         24
        .size:           4
        .value_kind:     hidden_block_count_z
      - .offset:         28
        .size:           2
        .value_kind:     hidden_group_size_x
      - .offset:         30
        .size:           2
        .value_kind:     hidden_group_size_y
      - .offset:         32
        .size:           2
        .value_kind:     hidden_group_size_z
      - .offset:         34
        .size:           2
        .value_kind:     hidden_remainder_x
      - .offset:         36
        .size:           2
        .value_kind:     hidden_remainder_y
      - .offset:         38
        .size:           2
        .value_kind:     hidden_remainder_z
      - .offset:         56
        .size:           8
        .value_kind:     hidden_global_offset_x
      - .offset:         64
        .size:           8
        .value_kind:     hidden_global_offset_y
      - .offset:         72
        .size:           8
        .value_kind:     hidden_global_offset_z
      - .offset:         80
        .size:           2
        .value_kind:     hidden_grid_dims
    .group_segment_fixed_size: 0
    .kernarg_segment_align: 8
    .kernarg_segment_size: 272
    .language:       OpenCL C
    .language_version:
      - 2
      - 0
    .max_flat_workgroup_size: 64
    .name:           _Z18warp_reduce_kernelI6__halfLj64ELj1EENSt9enable_ifIXsr10test_utilsE35device_test_enabled_for_warp_size_vIXT1_EEEvE4typeEPT_S5_
    .private_segment_fixed_size: 0
    .sgpr_count:     18
    .sgpr_spill_count: 0
    .symbol:         _Z18warp_reduce_kernelI6__halfLj64ELj1EENSt9enable_ifIXsr10test_utilsE35device_test_enabled_for_warp_size_vIXT1_EEEvE4typeEPT_S5_.kd
    .uniform_work_group_size: 1
    .uses_dynamic_stack: false
    .vgpr_count:     4
    .vgpr_spill_count: 0
    .wavefront_size: 32
    .workgroup_processor_mode: 1
  - .args:
      - .address_space:  global
        .offset:         0
        .size:           8
        .value_kind:     global_buffer
      - .address_space:  global
        .offset:         8
        .size:           8
        .value_kind:     global_buffer
    .group_segment_fixed_size: 0
    .kernarg_segment_align: 8
    .kernarg_segment_size: 16
    .language:       OpenCL C
    .language_version:
      - 2
      - 0
    .max_flat_workgroup_size: 256
    .name:           _Z18warp_reduce_kernelIfLj256ELj64EENSt9enable_ifIXntsr10test_utilsE35device_test_enabled_for_warp_size_vIXT1_EEEvE4typeEPT_S4_
    .private_segment_fixed_size: 0
    .sgpr_count:     0
    .sgpr_spill_count: 0
    .symbol:         _Z18warp_reduce_kernelIfLj256ELj64EENSt9enable_ifIXntsr10test_utilsE35device_test_enabled_for_warp_size_vIXT1_EEEvE4typeEPT_S4_.kd
    .uniform_work_group_size: 1
    .uses_dynamic_stack: false
    .vgpr_count:     0
    .vgpr_spill_count: 0
    .wavefront_size: 32
    .workgroup_processor_mode: 1
  - .args:
      - .address_space:  global
        .offset:         0
        .size:           8
        .value_kind:     global_buffer
      - .address_space:  global
        .offset:         8
        .size:           8
        .value_kind:     global_buffer
      - .offset:         16
        .size:           4
        .value_kind:     hidden_block_count_x
      - .offset:         20
        .size:           4
        .value_kind:     hidden_block_count_y
      - .offset:         24
        .size:           4
        .value_kind:     hidden_block_count_z
      - .offset:         28
        .size:           2
        .value_kind:     hidden_group_size_x
      - .offset:         30
        .size:           2
        .value_kind:     hidden_group_size_y
      - .offset:         32
        .size:           2
        .value_kind:     hidden_group_size_z
      - .offset:         34
        .size:           2
        .value_kind:     hidden_remainder_x
      - .offset:         36
        .size:           2
        .value_kind:     hidden_remainder_y
      - .offset:         38
        .size:           2
        .value_kind:     hidden_remainder_z
      - .offset:         56
        .size:           8
        .value_kind:     hidden_global_offset_x
      - .offset:         64
        .size:           8
        .value_kind:     hidden_global_offset_y
      - .offset:         72
        .size:           8
        .value_kind:     hidden_global_offset_z
      - .offset:         80
        .size:           2
        .value_kind:     hidden_grid_dims
    .group_segment_fixed_size: 0
    .kernarg_segment_align: 8
    .kernarg_segment_size: 272
    .language:       OpenCL C
    .language_version:
      - 2
      - 0
    .max_flat_workgroup_size: 128
    .name:           _Z18warp_reduce_kernelIfLj128ELj32EENSt9enable_ifIXsr10test_utilsE35device_test_enabled_for_warp_size_vIXT1_EEEvE4typeEPT_S4_
    .private_segment_fixed_size: 0
    .sgpr_count:     18
    .sgpr_spill_count: 0
    .symbol:         _Z18warp_reduce_kernelIfLj128ELj32EENSt9enable_ifIXsr10test_utilsE35device_test_enabled_for_warp_size_vIXT1_EEEvE4typeEPT_S4_.kd
    .uniform_work_group_size: 1
    .uses_dynamic_stack: false
    .vgpr_count:     5
    .vgpr_spill_count: 0
    .wavefront_size: 32
    .workgroup_processor_mode: 1
  - .args:
      - .address_space:  global
        .offset:         0
        .size:           8
        .value_kind:     global_buffer
      - .address_space:  global
        .offset:         8
        .size:           8
        .value_kind:     global_buffer
      - .offset:         16
        .size:           4
        .value_kind:     hidden_block_count_x
      - .offset:         20
        .size:           4
        .value_kind:     hidden_block_count_y
      - .offset:         24
        .size:           4
        .value_kind:     hidden_block_count_z
      - .offset:         28
        .size:           2
        .value_kind:     hidden_group_size_x
      - .offset:         30
        .size:           2
        .value_kind:     hidden_group_size_y
      - .offset:         32
        .size:           2
        .value_kind:     hidden_group_size_z
      - .offset:         34
        .size:           2
        .value_kind:     hidden_remainder_x
      - .offset:         36
        .size:           2
        .value_kind:     hidden_remainder_y
      - .offset:         38
        .size:           2
        .value_kind:     hidden_remainder_z
      - .offset:         56
        .size:           8
        .value_kind:     hidden_global_offset_x
      - .offset:         64
        .size:           8
        .value_kind:     hidden_global_offset_y
      - .offset:         72
        .size:           8
        .value_kind:     hidden_global_offset_z
      - .offset:         80
        .size:           2
        .value_kind:     hidden_grid_dims
    .group_segment_fixed_size: 0
    .kernarg_segment_align: 8
    .kernarg_segment_size: 272
    .language:       OpenCL C
    .language_version:
      - 2
      - 0
    .max_flat_workgroup_size: 64
    .name:           _Z18warp_reduce_kernelIfLj64ELj16EENSt9enable_ifIXsr10test_utilsE35device_test_enabled_for_warp_size_vIXT1_EEEvE4typeEPT_S4_
    .private_segment_fixed_size: 0
    .sgpr_count:     18
    .sgpr_spill_count: 0
    .symbol:         _Z18warp_reduce_kernelIfLj64ELj16EENSt9enable_ifIXsr10test_utilsE35device_test_enabled_for_warp_size_vIXT1_EEEvE4typeEPT_S4_.kd
    .uniform_work_group_size: 1
    .uses_dynamic_stack: false
    .vgpr_count:     7
    .vgpr_spill_count: 0
    .wavefront_size: 32
    .workgroup_processor_mode: 1
  - .args:
      - .address_space:  global
        .offset:         0
        .size:           8
        .value_kind:     global_buffer
      - .address_space:  global
        .offset:         8
        .size:           8
        .value_kind:     global_buffer
      - .offset:         16
        .size:           4
        .value_kind:     hidden_block_count_x
      - .offset:         20
        .size:           4
        .value_kind:     hidden_block_count_y
      - .offset:         24
        .size:           4
        .value_kind:     hidden_block_count_z
      - .offset:         28
        .size:           2
        .value_kind:     hidden_group_size_x
      - .offset:         30
        .size:           2
        .value_kind:     hidden_group_size_y
      - .offset:         32
        .size:           2
        .value_kind:     hidden_group_size_z
      - .offset:         34
        .size:           2
        .value_kind:     hidden_remainder_x
      - .offset:         36
        .size:           2
        .value_kind:     hidden_remainder_y
      - .offset:         38
        .size:           2
        .value_kind:     hidden_remainder_z
      - .offset:         56
        .size:           8
        .value_kind:     hidden_global_offset_x
      - .offset:         64
        .size:           8
        .value_kind:     hidden_global_offset_y
      - .offset:         72
        .size:           8
        .value_kind:     hidden_global_offset_z
      - .offset:         80
        .size:           2
        .value_kind:     hidden_grid_dims
    .group_segment_fixed_size: 0
    .kernarg_segment_align: 8
    .kernarg_segment_size: 272
    .language:       OpenCL C
    .language_version:
      - 2
      - 0
    .max_flat_workgroup_size: 32
    .name:           _Z18warp_reduce_kernelIfLj32ELj8EENSt9enable_ifIXsr10test_utilsE35device_test_enabled_for_warp_size_vIXT1_EEEvE4typeEPT_S4_
    .private_segment_fixed_size: 0
    .sgpr_count:     18
    .sgpr_spill_count: 0
    .symbol:         _Z18warp_reduce_kernelIfLj32ELj8EENSt9enable_ifIXsr10test_utilsE35device_test_enabled_for_warp_size_vIXT1_EEEvE4typeEPT_S4_.kd
    .uniform_work_group_size: 1
    .uses_dynamic_stack: false
    .vgpr_count:     7
    .vgpr_spill_count: 0
    .wavefront_size: 32
    .workgroup_processor_mode: 1
  - .args:
      - .address_space:  global
        .offset:         0
        .size:           8
        .value_kind:     global_buffer
      - .address_space:  global
        .offset:         8
        .size:           8
        .value_kind:     global_buffer
      - .offset:         16
        .size:           4
        .value_kind:     hidden_block_count_x
      - .offset:         20
        .size:           4
        .value_kind:     hidden_block_count_y
      - .offset:         24
        .size:           4
        .value_kind:     hidden_block_count_z
      - .offset:         28
        .size:           2
        .value_kind:     hidden_group_size_x
      - .offset:         30
        .size:           2
        .value_kind:     hidden_group_size_y
      - .offset:         32
        .size:           2
        .value_kind:     hidden_group_size_z
      - .offset:         34
        .size:           2
        .value_kind:     hidden_remainder_x
      - .offset:         36
        .size:           2
        .value_kind:     hidden_remainder_y
      - .offset:         38
        .size:           2
        .value_kind:     hidden_remainder_z
      - .offset:         56
        .size:           8
        .value_kind:     hidden_global_offset_x
      - .offset:         64
        .size:           8
        .value_kind:     hidden_global_offset_y
      - .offset:         72
        .size:           8
        .value_kind:     hidden_global_offset_z
      - .offset:         80
        .size:           2
        .value_kind:     hidden_grid_dims
    .group_segment_fixed_size: 0
    .kernarg_segment_align: 8
    .kernarg_segment_size: 272
    .language:       OpenCL C
    .language_version:
      - 2
      - 0
    .max_flat_workgroup_size: 64
    .name:           _Z18warp_reduce_kernelIfLj64ELj8EENSt9enable_ifIXsr10test_utilsE35device_test_enabled_for_warp_size_vIXT1_EEEvE4typeEPT_S4_
    .private_segment_fixed_size: 0
    .sgpr_count:     18
    .sgpr_spill_count: 0
    .symbol:         _Z18warp_reduce_kernelIfLj64ELj8EENSt9enable_ifIXsr10test_utilsE35device_test_enabled_for_warp_size_vIXT1_EEEvE4typeEPT_S4_.kd
    .uniform_work_group_size: 1
    .uses_dynamic_stack: false
    .vgpr_count:     7
    .vgpr_spill_count: 0
    .wavefront_size: 32
    .workgroup_processor_mode: 1
  - .args:
      - .address_space:  global
        .offset:         0
        .size:           8
        .value_kind:     global_buffer
      - .address_space:  global
        .offset:         8
        .size:           8
        .value_kind:     global_buffer
      - .offset:         16
        .size:           4
        .value_kind:     hidden_block_count_x
      - .offset:         20
        .size:           4
        .value_kind:     hidden_block_count_y
      - .offset:         24
        .size:           4
        .value_kind:     hidden_block_count_z
      - .offset:         28
        .size:           2
        .value_kind:     hidden_group_size_x
      - .offset:         30
        .size:           2
        .value_kind:     hidden_group_size_y
      - .offset:         32
        .size:           2
        .value_kind:     hidden_group_size_z
      - .offset:         34
        .size:           2
        .value_kind:     hidden_remainder_x
      - .offset:         36
        .size:           2
        .value_kind:     hidden_remainder_y
      - .offset:         38
        .size:           2
        .value_kind:     hidden_remainder_z
      - .offset:         56
        .size:           8
        .value_kind:     hidden_global_offset_x
      - .offset:         64
        .size:           8
        .value_kind:     hidden_global_offset_y
      - .offset:         72
        .size:           8
        .value_kind:     hidden_global_offset_z
      - .offset:         80
        .size:           2
        .value_kind:     hidden_grid_dims
    .group_segment_fixed_size: 0
    .kernarg_segment_align: 8
    .kernarg_segment_size: 272
    .language:       OpenCL C
    .language_version:
      - 2
      - 0
    .max_flat_workgroup_size: 32
    .name:           _Z18warp_reduce_kernelIfLj32ELj4EENSt9enable_ifIXsr10test_utilsE35device_test_enabled_for_warp_size_vIXT1_EEEvE4typeEPT_S4_
    .private_segment_fixed_size: 0
    .sgpr_count:     18
    .sgpr_spill_count: 0
    .symbol:         _Z18warp_reduce_kernelIfLj32ELj4EENSt9enable_ifIXsr10test_utilsE35device_test_enabled_for_warp_size_vIXT1_EEEvE4typeEPT_S4_.kd
    .uniform_work_group_size: 1
    .uses_dynamic_stack: false
    .vgpr_count:     6
    .vgpr_spill_count: 0
    .wavefront_size: 32
    .workgroup_processor_mode: 1
  - .args:
      - .address_space:  global
        .offset:         0
        .size:           8
        .value_kind:     global_buffer
      - .address_space:  global
        .offset:         8
        .size:           8
        .value_kind:     global_buffer
      - .offset:         16
        .size:           4
        .value_kind:     hidden_block_count_x
      - .offset:         20
        .size:           4
        .value_kind:     hidden_block_count_y
      - .offset:         24
        .size:           4
        .value_kind:     hidden_block_count_z
      - .offset:         28
        .size:           2
        .value_kind:     hidden_group_size_x
      - .offset:         30
        .size:           2
        .value_kind:     hidden_group_size_y
      - .offset:         32
        .size:           2
        .value_kind:     hidden_group_size_z
      - .offset:         34
        .size:           2
        .value_kind:     hidden_remainder_x
      - .offset:         36
        .size:           2
        .value_kind:     hidden_remainder_y
      - .offset:         38
        .size:           2
        .value_kind:     hidden_remainder_z
      - .offset:         56
        .size:           8
        .value_kind:     hidden_global_offset_x
      - .offset:         64
        .size:           8
        .value_kind:     hidden_global_offset_y
      - .offset:         72
        .size:           8
        .value_kind:     hidden_global_offset_z
      - .offset:         80
        .size:           2
        .value_kind:     hidden_grid_dims
    .group_segment_fixed_size: 0
    .kernarg_segment_align: 8
    .kernarg_segment_size: 272
    .language:       OpenCL C
    .language_version:
      - 2
      - 0
    .max_flat_workgroup_size: 64
    .name:           _Z18warp_reduce_kernelIfLj64ELj4EENSt9enable_ifIXsr10test_utilsE35device_test_enabled_for_warp_size_vIXT1_EEEvE4typeEPT_S4_
    .private_segment_fixed_size: 0
    .sgpr_count:     18
    .sgpr_spill_count: 0
    .symbol:         _Z18warp_reduce_kernelIfLj64ELj4EENSt9enable_ifIXsr10test_utilsE35device_test_enabled_for_warp_size_vIXT1_EEEvE4typeEPT_S4_.kd
    .uniform_work_group_size: 1
    .uses_dynamic_stack: false
    .vgpr_count:     6
    .vgpr_spill_count: 0
    .wavefront_size: 32
    .workgroup_processor_mode: 1
  - .args:
      - .address_space:  global
        .offset:         0
        .size:           8
        .value_kind:     global_buffer
      - .address_space:  global
        .offset:         8
        .size:           8
        .value_kind:     global_buffer
      - .offset:         16
        .size:           4
        .value_kind:     hidden_block_count_x
      - .offset:         20
        .size:           4
        .value_kind:     hidden_block_count_y
      - .offset:         24
        .size:           4
        .value_kind:     hidden_block_count_z
      - .offset:         28
        .size:           2
        .value_kind:     hidden_group_size_x
      - .offset:         30
        .size:           2
        .value_kind:     hidden_group_size_y
      - .offset:         32
        .size:           2
        .value_kind:     hidden_group_size_z
      - .offset:         34
        .size:           2
        .value_kind:     hidden_remainder_x
      - .offset:         36
        .size:           2
        .value_kind:     hidden_remainder_y
      - .offset:         38
        .size:           2
        .value_kind:     hidden_remainder_z
      - .offset:         56
        .size:           8
        .value_kind:     hidden_global_offset_x
      - .offset:         64
        .size:           8
        .value_kind:     hidden_global_offset_y
      - .offset:         72
        .size:           8
        .value_kind:     hidden_global_offset_z
      - .offset:         80
        .size:           2
        .value_kind:     hidden_grid_dims
    .group_segment_fixed_size: 0
    .kernarg_segment_align: 8
    .kernarg_segment_size: 272
    .language:       OpenCL C
    .language_version:
      - 2
      - 0
    .max_flat_workgroup_size: 32
    .name:           _Z18warp_reduce_kernelIfLj32ELj2EENSt9enable_ifIXsr10test_utilsE35device_test_enabled_for_warp_size_vIXT1_EEEvE4typeEPT_S4_
    .private_segment_fixed_size: 0
    .sgpr_count:     18
    .sgpr_spill_count: 0
    .symbol:         _Z18warp_reduce_kernelIfLj32ELj2EENSt9enable_ifIXsr10test_utilsE35device_test_enabled_for_warp_size_vIXT1_EEEvE4typeEPT_S4_.kd
    .uniform_work_group_size: 1
    .uses_dynamic_stack: false
    .vgpr_count:     5
    .vgpr_spill_count: 0
    .wavefront_size: 32
    .workgroup_processor_mode: 1
  - .args:
      - .address_space:  global
        .offset:         0
        .size:           8
        .value_kind:     global_buffer
      - .address_space:  global
        .offset:         8
        .size:           8
        .value_kind:     global_buffer
      - .offset:         16
        .size:           4
        .value_kind:     hidden_block_count_x
      - .offset:         20
        .size:           4
        .value_kind:     hidden_block_count_y
      - .offset:         24
        .size:           4
        .value_kind:     hidden_block_count_z
      - .offset:         28
        .size:           2
        .value_kind:     hidden_group_size_x
      - .offset:         30
        .size:           2
        .value_kind:     hidden_group_size_y
      - .offset:         32
        .size:           2
        .value_kind:     hidden_group_size_z
      - .offset:         34
        .size:           2
        .value_kind:     hidden_remainder_x
      - .offset:         36
        .size:           2
        .value_kind:     hidden_remainder_y
      - .offset:         38
        .size:           2
        .value_kind:     hidden_remainder_z
      - .offset:         56
        .size:           8
        .value_kind:     hidden_global_offset_x
      - .offset:         64
        .size:           8
        .value_kind:     hidden_global_offset_y
      - .offset:         72
        .size:           8
        .value_kind:     hidden_global_offset_z
      - .offset:         80
        .size:           2
        .value_kind:     hidden_grid_dims
    .group_segment_fixed_size: 0
    .kernarg_segment_align: 8
    .kernarg_segment_size: 272
    .language:       OpenCL C
    .language_version:
      - 2
      - 0
    .max_flat_workgroup_size: 64
    .name:           _Z18warp_reduce_kernelIfLj64ELj2EENSt9enable_ifIXsr10test_utilsE35device_test_enabled_for_warp_size_vIXT1_EEEvE4typeEPT_S4_
    .private_segment_fixed_size: 0
    .sgpr_count:     18
    .sgpr_spill_count: 0
    .symbol:         _Z18warp_reduce_kernelIfLj64ELj2EENSt9enable_ifIXsr10test_utilsE35device_test_enabled_for_warp_size_vIXT1_EEEvE4typeEPT_S4_.kd
    .uniform_work_group_size: 1
    .uses_dynamic_stack: false
    .vgpr_count:     5
    .vgpr_spill_count: 0
    .wavefront_size: 32
    .workgroup_processor_mode: 1
  - .args:
      - .address_space:  global
        .offset:         0
        .size:           8
        .value_kind:     global_buffer
      - .address_space:  global
        .offset:         8
        .size:           8
        .value_kind:     global_buffer
      - .offset:         16
        .size:           4
        .value_kind:     hidden_block_count_x
      - .offset:         20
        .size:           4
        .value_kind:     hidden_block_count_y
      - .offset:         24
        .size:           4
        .value_kind:     hidden_block_count_z
      - .offset:         28
        .size:           2
        .value_kind:     hidden_group_size_x
      - .offset:         30
        .size:           2
        .value_kind:     hidden_group_size_y
      - .offset:         32
        .size:           2
        .value_kind:     hidden_group_size_z
      - .offset:         34
        .size:           2
        .value_kind:     hidden_remainder_x
      - .offset:         36
        .size:           2
        .value_kind:     hidden_remainder_y
      - .offset:         38
        .size:           2
        .value_kind:     hidden_remainder_z
      - .offset:         56
        .size:           8
        .value_kind:     hidden_global_offset_x
      - .offset:         64
        .size:           8
        .value_kind:     hidden_global_offset_y
      - .offset:         72
        .size:           8
        .value_kind:     hidden_global_offset_z
      - .offset:         80
        .size:           2
        .value_kind:     hidden_grid_dims
    .group_segment_fixed_size: 0
    .kernarg_segment_align: 8
    .kernarg_segment_size: 272
    .language:       OpenCL C
    .language_version:
      - 2
      - 0
    .max_flat_workgroup_size: 32
    .name:           _Z18warp_reduce_kernelIfLj32ELj1EENSt9enable_ifIXsr10test_utilsE35device_test_enabled_for_warp_size_vIXT1_EEEvE4typeEPT_S4_
    .private_segment_fixed_size: 0
    .sgpr_count:     18
    .sgpr_spill_count: 0
    .symbol:         _Z18warp_reduce_kernelIfLj32ELj1EENSt9enable_ifIXsr10test_utilsE35device_test_enabled_for_warp_size_vIXT1_EEEvE4typeEPT_S4_.kd
    .uniform_work_group_size: 1
    .uses_dynamic_stack: false
    .vgpr_count:     4
    .vgpr_spill_count: 0
    .wavefront_size: 32
    .workgroup_processor_mode: 1
  - .args:
      - .address_space:  global
        .offset:         0
        .size:           8
        .value_kind:     global_buffer
      - .address_space:  global
        .offset:         8
        .size:           8
        .value_kind:     global_buffer
      - .offset:         16
        .size:           4
        .value_kind:     hidden_block_count_x
      - .offset:         20
        .size:           4
        .value_kind:     hidden_block_count_y
      - .offset:         24
        .size:           4
        .value_kind:     hidden_block_count_z
      - .offset:         28
        .size:           2
        .value_kind:     hidden_group_size_x
      - .offset:         30
        .size:           2
        .value_kind:     hidden_group_size_y
      - .offset:         32
        .size:           2
        .value_kind:     hidden_group_size_z
      - .offset:         34
        .size:           2
        .value_kind:     hidden_remainder_x
      - .offset:         36
        .size:           2
        .value_kind:     hidden_remainder_y
      - .offset:         38
        .size:           2
        .value_kind:     hidden_remainder_z
      - .offset:         56
        .size:           8
        .value_kind:     hidden_global_offset_x
      - .offset:         64
        .size:           8
        .value_kind:     hidden_global_offset_y
      - .offset:         72
        .size:           8
        .value_kind:     hidden_global_offset_z
      - .offset:         80
        .size:           2
        .value_kind:     hidden_grid_dims
    .group_segment_fixed_size: 0
    .kernarg_segment_align: 8
    .kernarg_segment_size: 272
    .language:       OpenCL C
    .language_version:
      - 2
      - 0
    .max_flat_workgroup_size: 64
    .name:           _Z18warp_reduce_kernelIfLj64ELj1EENSt9enable_ifIXsr10test_utilsE35device_test_enabled_for_warp_size_vIXT1_EEEvE4typeEPT_S4_
    .private_segment_fixed_size: 0
    .sgpr_count:     18
    .sgpr_spill_count: 0
    .symbol:         _Z18warp_reduce_kernelIfLj64ELj1EENSt9enable_ifIXsr10test_utilsE35device_test_enabled_for_warp_size_vIXT1_EEEvE4typeEPT_S4_.kd
    .uniform_work_group_size: 1
    .uses_dynamic_stack: false
    .vgpr_count:     4
    .vgpr_spill_count: 0
    .wavefront_size: 32
    .workgroup_processor_mode: 1
  - .args:
      - .address_space:  global
        .offset:         0
        .size:           8
        .value_kind:     global_buffer
      - .address_space:  global
        .offset:         8
        .size:           8
        .value_kind:     global_buffer
    .group_segment_fixed_size: 0
    .kernarg_segment_align: 8
    .kernarg_segment_size: 16
    .language:       OpenCL C
    .language_version:
      - 2
      - 0
    .max_flat_workgroup_size: 256
    .name:           _Z18warp_reduce_kernelIiLj256ELj64EENSt9enable_ifIXntsr10test_utilsE35device_test_enabled_for_warp_size_vIXT1_EEEvE4typeEPT_S4_
    .private_segment_fixed_size: 0
    .sgpr_count:     0
    .sgpr_spill_count: 0
    .symbol:         _Z18warp_reduce_kernelIiLj256ELj64EENSt9enable_ifIXntsr10test_utilsE35device_test_enabled_for_warp_size_vIXT1_EEEvE4typeEPT_S4_.kd
    .uniform_work_group_size: 1
    .uses_dynamic_stack: false
    .vgpr_count:     0
    .vgpr_spill_count: 0
    .wavefront_size: 32
    .workgroup_processor_mode: 1
  - .args:
      - .address_space:  global
        .offset:         0
        .size:           8
        .value_kind:     global_buffer
      - .address_space:  global
        .offset:         8
        .size:           8
        .value_kind:     global_buffer
      - .offset:         16
        .size:           4
        .value_kind:     hidden_block_count_x
      - .offset:         20
        .size:           4
        .value_kind:     hidden_block_count_y
      - .offset:         24
        .size:           4
        .value_kind:     hidden_block_count_z
      - .offset:         28
        .size:           2
        .value_kind:     hidden_group_size_x
      - .offset:         30
        .size:           2
        .value_kind:     hidden_group_size_y
      - .offset:         32
        .size:           2
        .value_kind:     hidden_group_size_z
      - .offset:         34
        .size:           2
        .value_kind:     hidden_remainder_x
      - .offset:         36
        .size:           2
        .value_kind:     hidden_remainder_y
      - .offset:         38
        .size:           2
        .value_kind:     hidden_remainder_z
      - .offset:         56
        .size:           8
        .value_kind:     hidden_global_offset_x
      - .offset:         64
        .size:           8
        .value_kind:     hidden_global_offset_y
      - .offset:         72
        .size:           8
        .value_kind:     hidden_global_offset_z
      - .offset:         80
        .size:           2
        .value_kind:     hidden_grid_dims
    .group_segment_fixed_size: 0
    .kernarg_segment_align: 8
    .kernarg_segment_size: 272
    .language:       OpenCL C
    .language_version:
      - 2
      - 0
    .max_flat_workgroup_size: 128
    .name:           _Z18warp_reduce_kernelIiLj128ELj32EENSt9enable_ifIXsr10test_utilsE35device_test_enabled_for_warp_size_vIXT1_EEEvE4typeEPT_S4_
    .private_segment_fixed_size: 0
    .sgpr_count:     18
    .sgpr_spill_count: 0
    .symbol:         _Z18warp_reduce_kernelIiLj128ELj32EENSt9enable_ifIXsr10test_utilsE35device_test_enabled_for_warp_size_vIXT1_EEEvE4typeEPT_S4_.kd
    .uniform_work_group_size: 1
    .uses_dynamic_stack: false
    .vgpr_count:     5
    .vgpr_spill_count: 0
    .wavefront_size: 32
    .workgroup_processor_mode: 1
  - .args:
      - .address_space:  global
        .offset:         0
        .size:           8
        .value_kind:     global_buffer
      - .address_space:  global
        .offset:         8
        .size:           8
        .value_kind:     global_buffer
      - .offset:         16
        .size:           4
        .value_kind:     hidden_block_count_x
      - .offset:         20
        .size:           4
        .value_kind:     hidden_block_count_y
      - .offset:         24
        .size:           4
        .value_kind:     hidden_block_count_z
      - .offset:         28
        .size:           2
        .value_kind:     hidden_group_size_x
      - .offset:         30
        .size:           2
        .value_kind:     hidden_group_size_y
      - .offset:         32
        .size:           2
        .value_kind:     hidden_group_size_z
      - .offset:         34
        .size:           2
        .value_kind:     hidden_remainder_x
      - .offset:         36
        .size:           2
        .value_kind:     hidden_remainder_y
      - .offset:         38
        .size:           2
        .value_kind:     hidden_remainder_z
      - .offset:         56
        .size:           8
        .value_kind:     hidden_global_offset_x
      - .offset:         64
        .size:           8
        .value_kind:     hidden_global_offset_y
      - .offset:         72
        .size:           8
        .value_kind:     hidden_global_offset_z
      - .offset:         80
        .size:           2
        .value_kind:     hidden_grid_dims
    .group_segment_fixed_size: 0
    .kernarg_segment_align: 8
    .kernarg_segment_size: 272
    .language:       OpenCL C
    .language_version:
      - 2
      - 0
    .max_flat_workgroup_size: 64
    .name:           _Z18warp_reduce_kernelIiLj64ELj16EENSt9enable_ifIXsr10test_utilsE35device_test_enabled_for_warp_size_vIXT1_EEEvE4typeEPT_S4_
    .private_segment_fixed_size: 0
    .sgpr_count:     18
    .sgpr_spill_count: 0
    .symbol:         _Z18warp_reduce_kernelIiLj64ELj16EENSt9enable_ifIXsr10test_utilsE35device_test_enabled_for_warp_size_vIXT1_EEEvE4typeEPT_S4_.kd
    .uniform_work_group_size: 1
    .uses_dynamic_stack: false
    .vgpr_count:     7
    .vgpr_spill_count: 0
    .wavefront_size: 32
    .workgroup_processor_mode: 1
  - .args:
      - .address_space:  global
        .offset:         0
        .size:           8
        .value_kind:     global_buffer
      - .address_space:  global
        .offset:         8
        .size:           8
        .value_kind:     global_buffer
      - .offset:         16
        .size:           4
        .value_kind:     hidden_block_count_x
      - .offset:         20
        .size:           4
        .value_kind:     hidden_block_count_y
      - .offset:         24
        .size:           4
        .value_kind:     hidden_block_count_z
      - .offset:         28
        .size:           2
        .value_kind:     hidden_group_size_x
      - .offset:         30
        .size:           2
        .value_kind:     hidden_group_size_y
      - .offset:         32
        .size:           2
        .value_kind:     hidden_group_size_z
      - .offset:         34
        .size:           2
        .value_kind:     hidden_remainder_x
      - .offset:         36
        .size:           2
        .value_kind:     hidden_remainder_y
      - .offset:         38
        .size:           2
        .value_kind:     hidden_remainder_z
      - .offset:         56
        .size:           8
        .value_kind:     hidden_global_offset_x
      - .offset:         64
        .size:           8
        .value_kind:     hidden_global_offset_y
      - .offset:         72
        .size:           8
        .value_kind:     hidden_global_offset_z
      - .offset:         80
        .size:           2
        .value_kind:     hidden_grid_dims
    .group_segment_fixed_size: 0
    .kernarg_segment_align: 8
    .kernarg_segment_size: 272
    .language:       OpenCL C
    .language_version:
      - 2
      - 0
    .max_flat_workgroup_size: 32
    .name:           _Z18warp_reduce_kernelIiLj32ELj8EENSt9enable_ifIXsr10test_utilsE35device_test_enabled_for_warp_size_vIXT1_EEEvE4typeEPT_S4_
    .private_segment_fixed_size: 0
    .sgpr_count:     18
    .sgpr_spill_count: 0
    .symbol:         _Z18warp_reduce_kernelIiLj32ELj8EENSt9enable_ifIXsr10test_utilsE35device_test_enabled_for_warp_size_vIXT1_EEEvE4typeEPT_S4_.kd
    .uniform_work_group_size: 1
    .uses_dynamic_stack: false
    .vgpr_count:     7
    .vgpr_spill_count: 0
    .wavefront_size: 32
    .workgroup_processor_mode: 1
  - .args:
      - .address_space:  global
        .offset:         0
        .size:           8
        .value_kind:     global_buffer
      - .address_space:  global
        .offset:         8
        .size:           8
        .value_kind:     global_buffer
      - .offset:         16
        .size:           4
        .value_kind:     hidden_block_count_x
      - .offset:         20
        .size:           4
        .value_kind:     hidden_block_count_y
      - .offset:         24
        .size:           4
        .value_kind:     hidden_block_count_z
      - .offset:         28
        .size:           2
        .value_kind:     hidden_group_size_x
      - .offset:         30
        .size:           2
        .value_kind:     hidden_group_size_y
      - .offset:         32
        .size:           2
        .value_kind:     hidden_group_size_z
      - .offset:         34
        .size:           2
        .value_kind:     hidden_remainder_x
      - .offset:         36
        .size:           2
        .value_kind:     hidden_remainder_y
      - .offset:         38
        .size:           2
        .value_kind:     hidden_remainder_z
      - .offset:         56
        .size:           8
        .value_kind:     hidden_global_offset_x
      - .offset:         64
        .size:           8
        .value_kind:     hidden_global_offset_y
      - .offset:         72
        .size:           8
        .value_kind:     hidden_global_offset_z
      - .offset:         80
        .size:           2
        .value_kind:     hidden_grid_dims
    .group_segment_fixed_size: 0
    .kernarg_segment_align: 8
    .kernarg_segment_size: 272
    .language:       OpenCL C
    .language_version:
      - 2
      - 0
    .max_flat_workgroup_size: 64
    .name:           _Z18warp_reduce_kernelIiLj64ELj8EENSt9enable_ifIXsr10test_utilsE35device_test_enabled_for_warp_size_vIXT1_EEEvE4typeEPT_S4_
    .private_segment_fixed_size: 0
    .sgpr_count:     18
    .sgpr_spill_count: 0
    .symbol:         _Z18warp_reduce_kernelIiLj64ELj8EENSt9enable_ifIXsr10test_utilsE35device_test_enabled_for_warp_size_vIXT1_EEEvE4typeEPT_S4_.kd
    .uniform_work_group_size: 1
    .uses_dynamic_stack: false
    .vgpr_count:     7
    .vgpr_spill_count: 0
    .wavefront_size: 32
    .workgroup_processor_mode: 1
  - .args:
      - .address_space:  global
        .offset:         0
        .size:           8
        .value_kind:     global_buffer
      - .address_space:  global
        .offset:         8
        .size:           8
        .value_kind:     global_buffer
      - .offset:         16
        .size:           4
        .value_kind:     hidden_block_count_x
      - .offset:         20
        .size:           4
        .value_kind:     hidden_block_count_y
      - .offset:         24
        .size:           4
        .value_kind:     hidden_block_count_z
      - .offset:         28
        .size:           2
        .value_kind:     hidden_group_size_x
      - .offset:         30
        .size:           2
        .value_kind:     hidden_group_size_y
      - .offset:         32
        .size:           2
        .value_kind:     hidden_group_size_z
      - .offset:         34
        .size:           2
        .value_kind:     hidden_remainder_x
      - .offset:         36
        .size:           2
        .value_kind:     hidden_remainder_y
      - .offset:         38
        .size:           2
        .value_kind:     hidden_remainder_z
      - .offset:         56
        .size:           8
        .value_kind:     hidden_global_offset_x
      - .offset:         64
        .size:           8
        .value_kind:     hidden_global_offset_y
      - .offset:         72
        .size:           8
        .value_kind:     hidden_global_offset_z
      - .offset:         80
        .size:           2
        .value_kind:     hidden_grid_dims
    .group_segment_fixed_size: 0
    .kernarg_segment_align: 8
    .kernarg_segment_size: 272
    .language:       OpenCL C
    .language_version:
      - 2
      - 0
    .max_flat_workgroup_size: 32
    .name:           _Z18warp_reduce_kernelIiLj32ELj4EENSt9enable_ifIXsr10test_utilsE35device_test_enabled_for_warp_size_vIXT1_EEEvE4typeEPT_S4_
    .private_segment_fixed_size: 0
    .sgpr_count:     18
    .sgpr_spill_count: 0
    .symbol:         _Z18warp_reduce_kernelIiLj32ELj4EENSt9enable_ifIXsr10test_utilsE35device_test_enabled_for_warp_size_vIXT1_EEEvE4typeEPT_S4_.kd
    .uniform_work_group_size: 1
    .uses_dynamic_stack: false
    .vgpr_count:     6
    .vgpr_spill_count: 0
    .wavefront_size: 32
    .workgroup_processor_mode: 1
  - .args:
      - .address_space:  global
        .offset:         0
        .size:           8
        .value_kind:     global_buffer
      - .address_space:  global
        .offset:         8
        .size:           8
        .value_kind:     global_buffer
      - .offset:         16
        .size:           4
        .value_kind:     hidden_block_count_x
      - .offset:         20
        .size:           4
        .value_kind:     hidden_block_count_y
      - .offset:         24
        .size:           4
        .value_kind:     hidden_block_count_z
      - .offset:         28
        .size:           2
        .value_kind:     hidden_group_size_x
      - .offset:         30
        .size:           2
        .value_kind:     hidden_group_size_y
      - .offset:         32
        .size:           2
        .value_kind:     hidden_group_size_z
      - .offset:         34
        .size:           2
        .value_kind:     hidden_remainder_x
      - .offset:         36
        .size:           2
        .value_kind:     hidden_remainder_y
      - .offset:         38
        .size:           2
        .value_kind:     hidden_remainder_z
      - .offset:         56
        .size:           8
        .value_kind:     hidden_global_offset_x
      - .offset:         64
        .size:           8
        .value_kind:     hidden_global_offset_y
      - .offset:         72
        .size:           8
        .value_kind:     hidden_global_offset_z
      - .offset:         80
        .size:           2
        .value_kind:     hidden_grid_dims
    .group_segment_fixed_size: 0
    .kernarg_segment_align: 8
    .kernarg_segment_size: 272
    .language:       OpenCL C
    .language_version:
      - 2
      - 0
    .max_flat_workgroup_size: 64
    .name:           _Z18warp_reduce_kernelIiLj64ELj4EENSt9enable_ifIXsr10test_utilsE35device_test_enabled_for_warp_size_vIXT1_EEEvE4typeEPT_S4_
    .private_segment_fixed_size: 0
    .sgpr_count:     18
    .sgpr_spill_count: 0
    .symbol:         _Z18warp_reduce_kernelIiLj64ELj4EENSt9enable_ifIXsr10test_utilsE35device_test_enabled_for_warp_size_vIXT1_EEEvE4typeEPT_S4_.kd
    .uniform_work_group_size: 1
    .uses_dynamic_stack: false
    .vgpr_count:     6
    .vgpr_spill_count: 0
    .wavefront_size: 32
    .workgroup_processor_mode: 1
  - .args:
      - .address_space:  global
        .offset:         0
        .size:           8
        .value_kind:     global_buffer
      - .address_space:  global
        .offset:         8
        .size:           8
        .value_kind:     global_buffer
      - .offset:         16
        .size:           4
        .value_kind:     hidden_block_count_x
      - .offset:         20
        .size:           4
        .value_kind:     hidden_block_count_y
      - .offset:         24
        .size:           4
        .value_kind:     hidden_block_count_z
      - .offset:         28
        .size:           2
        .value_kind:     hidden_group_size_x
      - .offset:         30
        .size:           2
        .value_kind:     hidden_group_size_y
      - .offset:         32
        .size:           2
        .value_kind:     hidden_group_size_z
      - .offset:         34
        .size:           2
        .value_kind:     hidden_remainder_x
      - .offset:         36
        .size:           2
        .value_kind:     hidden_remainder_y
      - .offset:         38
        .size:           2
        .value_kind:     hidden_remainder_z
      - .offset:         56
        .size:           8
        .value_kind:     hidden_global_offset_x
      - .offset:         64
        .size:           8
        .value_kind:     hidden_global_offset_y
      - .offset:         72
        .size:           8
        .value_kind:     hidden_global_offset_z
      - .offset:         80
        .size:           2
        .value_kind:     hidden_grid_dims
    .group_segment_fixed_size: 0
    .kernarg_segment_align: 8
    .kernarg_segment_size: 272
    .language:       OpenCL C
    .language_version:
      - 2
      - 0
    .max_flat_workgroup_size: 32
    .name:           _Z18warp_reduce_kernelIiLj32ELj2EENSt9enable_ifIXsr10test_utilsE35device_test_enabled_for_warp_size_vIXT1_EEEvE4typeEPT_S4_
    .private_segment_fixed_size: 0
    .sgpr_count:     18
    .sgpr_spill_count: 0
    .symbol:         _Z18warp_reduce_kernelIiLj32ELj2EENSt9enable_ifIXsr10test_utilsE35device_test_enabled_for_warp_size_vIXT1_EEEvE4typeEPT_S4_.kd
    .uniform_work_group_size: 1
    .uses_dynamic_stack: false
    .vgpr_count:     5
    .vgpr_spill_count: 0
    .wavefront_size: 32
    .workgroup_processor_mode: 1
  - .args:
      - .address_space:  global
        .offset:         0
        .size:           8
        .value_kind:     global_buffer
      - .address_space:  global
        .offset:         8
        .size:           8
        .value_kind:     global_buffer
      - .offset:         16
        .size:           4
        .value_kind:     hidden_block_count_x
      - .offset:         20
        .size:           4
        .value_kind:     hidden_block_count_y
      - .offset:         24
        .size:           4
        .value_kind:     hidden_block_count_z
      - .offset:         28
        .size:           2
        .value_kind:     hidden_group_size_x
      - .offset:         30
        .size:           2
        .value_kind:     hidden_group_size_y
      - .offset:         32
        .size:           2
        .value_kind:     hidden_group_size_z
      - .offset:         34
        .size:           2
        .value_kind:     hidden_remainder_x
      - .offset:         36
        .size:           2
        .value_kind:     hidden_remainder_y
      - .offset:         38
        .size:           2
        .value_kind:     hidden_remainder_z
      - .offset:         56
        .size:           8
        .value_kind:     hidden_global_offset_x
      - .offset:         64
        .size:           8
        .value_kind:     hidden_global_offset_y
      - .offset:         72
        .size:           8
        .value_kind:     hidden_global_offset_z
      - .offset:         80
        .size:           2
        .value_kind:     hidden_grid_dims
    .group_segment_fixed_size: 0
    .kernarg_segment_align: 8
    .kernarg_segment_size: 272
    .language:       OpenCL C
    .language_version:
      - 2
      - 0
    .max_flat_workgroup_size: 64
    .name:           _Z18warp_reduce_kernelIiLj64ELj2EENSt9enable_ifIXsr10test_utilsE35device_test_enabled_for_warp_size_vIXT1_EEEvE4typeEPT_S4_
    .private_segment_fixed_size: 0
    .sgpr_count:     18
    .sgpr_spill_count: 0
    .symbol:         _Z18warp_reduce_kernelIiLj64ELj2EENSt9enable_ifIXsr10test_utilsE35device_test_enabled_for_warp_size_vIXT1_EEEvE4typeEPT_S4_.kd
    .uniform_work_group_size: 1
    .uses_dynamic_stack: false
    .vgpr_count:     5
    .vgpr_spill_count: 0
    .wavefront_size: 32
    .workgroup_processor_mode: 1
  - .args:
      - .address_space:  global
        .offset:         0
        .size:           8
        .value_kind:     global_buffer
      - .address_space:  global
        .offset:         8
        .size:           8
        .value_kind:     global_buffer
      - .offset:         16
        .size:           4
        .value_kind:     hidden_block_count_x
      - .offset:         20
        .size:           4
        .value_kind:     hidden_block_count_y
      - .offset:         24
        .size:           4
        .value_kind:     hidden_block_count_z
      - .offset:         28
        .size:           2
        .value_kind:     hidden_group_size_x
      - .offset:         30
        .size:           2
        .value_kind:     hidden_group_size_y
      - .offset:         32
        .size:           2
        .value_kind:     hidden_group_size_z
      - .offset:         34
        .size:           2
        .value_kind:     hidden_remainder_x
      - .offset:         36
        .size:           2
        .value_kind:     hidden_remainder_y
      - .offset:         38
        .size:           2
        .value_kind:     hidden_remainder_z
      - .offset:         56
        .size:           8
        .value_kind:     hidden_global_offset_x
      - .offset:         64
        .size:           8
        .value_kind:     hidden_global_offset_y
      - .offset:         72
        .size:           8
        .value_kind:     hidden_global_offset_z
      - .offset:         80
        .size:           2
        .value_kind:     hidden_grid_dims
    .group_segment_fixed_size: 0
    .kernarg_segment_align: 8
    .kernarg_segment_size: 272
    .language:       OpenCL C
    .language_version:
      - 2
      - 0
    .max_flat_workgroup_size: 32
    .name:           _Z18warp_reduce_kernelIiLj32ELj1EENSt9enable_ifIXsr10test_utilsE35device_test_enabled_for_warp_size_vIXT1_EEEvE4typeEPT_S4_
    .private_segment_fixed_size: 0
    .sgpr_count:     18
    .sgpr_spill_count: 0
    .symbol:         _Z18warp_reduce_kernelIiLj32ELj1EENSt9enable_ifIXsr10test_utilsE35device_test_enabled_for_warp_size_vIXT1_EEEvE4typeEPT_S4_.kd
    .uniform_work_group_size: 1
    .uses_dynamic_stack: false
    .vgpr_count:     4
    .vgpr_spill_count: 0
    .wavefront_size: 32
    .workgroup_processor_mode: 1
  - .args:
      - .address_space:  global
        .offset:         0
        .size:           8
        .value_kind:     global_buffer
      - .address_space:  global
        .offset:         8
        .size:           8
        .value_kind:     global_buffer
      - .offset:         16
        .size:           4
        .value_kind:     hidden_block_count_x
      - .offset:         20
        .size:           4
        .value_kind:     hidden_block_count_y
      - .offset:         24
        .size:           4
        .value_kind:     hidden_block_count_z
      - .offset:         28
        .size:           2
        .value_kind:     hidden_group_size_x
      - .offset:         30
        .size:           2
        .value_kind:     hidden_group_size_y
      - .offset:         32
        .size:           2
        .value_kind:     hidden_group_size_z
      - .offset:         34
        .size:           2
        .value_kind:     hidden_remainder_x
      - .offset:         36
        .size:           2
        .value_kind:     hidden_remainder_y
      - .offset:         38
        .size:           2
        .value_kind:     hidden_remainder_z
      - .offset:         56
        .size:           8
        .value_kind:     hidden_global_offset_x
      - .offset:         64
        .size:           8
        .value_kind:     hidden_global_offset_y
      - .offset:         72
        .size:           8
        .value_kind:     hidden_global_offset_z
      - .offset:         80
        .size:           2
        .value_kind:     hidden_grid_dims
    .group_segment_fixed_size: 0
    .kernarg_segment_align: 8
    .kernarg_segment_size: 272
    .language:       OpenCL C
    .language_version:
      - 2
      - 0
    .max_flat_workgroup_size: 64
    .name:           _Z18warp_reduce_kernelIiLj64ELj1EENSt9enable_ifIXsr10test_utilsE35device_test_enabled_for_warp_size_vIXT1_EEEvE4typeEPT_S4_
    .private_segment_fixed_size: 0
    .sgpr_count:     18
    .sgpr_spill_count: 0
    .symbol:         _Z18warp_reduce_kernelIiLj64ELj1EENSt9enable_ifIXsr10test_utilsE35device_test_enabled_for_warp_size_vIXT1_EEEvE4typeEPT_S4_.kd
    .uniform_work_group_size: 1
    .uses_dynamic_stack: false
    .vgpr_count:     4
    .vgpr_spill_count: 0
    .wavefront_size: 32
    .workgroup_processor_mode: 1
  - .args:
      - .address_space:  global
        .offset:         0
        .size:           8
        .value_kind:     global_buffer
      - .address_space:  global
        .offset:         8
        .size:           8
        .value_kind:     global_buffer
      - .offset:         16
        .size:           4
        .value_kind:     by_value
    .group_segment_fixed_size: 0
    .kernarg_segment_align: 8
    .kernarg_segment_size: 20
    .language:       OpenCL C
    .language_version:
      - 2
      - 0
    .max_flat_workgroup_size: 1
    .name:           _Z24warp_reduce_valid_kernelIfLj1ELj61EENSt9enable_ifIXntsr10test_utilsE35device_test_enabled_for_warp_size_vIXT1_EEEvE4typeEPT_S4_i
    .private_segment_fixed_size: 0
    .sgpr_count:     0
    .sgpr_spill_count: 0
    .symbol:         _Z24warp_reduce_valid_kernelIfLj1ELj61EENSt9enable_ifIXntsr10test_utilsE35device_test_enabled_for_warp_size_vIXT1_EEEvE4typeEPT_S4_i.kd
    .uniform_work_group_size: 1
    .uses_dynamic_stack: false
    .vgpr_count:     0
    .vgpr_spill_count: 0
    .wavefront_size: 32
    .workgroup_processor_mode: 1
  - .args:
      - .address_space:  global
        .offset:         0
        .size:           8
        .value_kind:     global_buffer
      - .address_space:  global
        .offset:         8
        .size:           8
        .value_kind:     global_buffer
      - .offset:         16
        .size:           4
        .value_kind:     by_value
    .group_segment_fixed_size: 0
    .kernarg_segment_align: 8
    .kernarg_segment_size: 20
    .language:       OpenCL C
    .language_version:
      - 2
      - 0
    .max_flat_workgroup_size: 61
    .name:           _Z24warp_reduce_valid_kernelIfLj61ELj61EENSt9enable_ifIXntsr10test_utilsE35device_test_enabled_for_warp_size_vIXT1_EEEvE4typeEPT_S4_i
    .private_segment_fixed_size: 0
    .sgpr_count:     0
    .sgpr_spill_count: 0
    .symbol:         _Z24warp_reduce_valid_kernelIfLj61ELj61EENSt9enable_ifIXntsr10test_utilsE35device_test_enabled_for_warp_size_vIXT1_EEEvE4typeEPT_S4_i.kd
    .uniform_work_group_size: 1
    .uses_dynamic_stack: false
    .vgpr_count:     0
    .vgpr_spill_count: 0
    .wavefront_size: 32
    .workgroup_processor_mode: 1
  - .args:
      - .address_space:  global
        .offset:         0
        .size:           8
        .value_kind:     global_buffer
      - .address_space:  global
        .offset:         8
        .size:           8
        .value_kind:     global_buffer
      - .offset:         16
        .size:           4
        .value_kind:     by_value
    .group_segment_fixed_size: 0
    .kernarg_segment_align: 8
    .kernarg_segment_size: 20
    .language:       OpenCL C
    .language_version:
      - 2
      - 0
    .max_flat_workgroup_size: 1
    .name:           _Z24warp_reduce_valid_kernelIfLj1ELj37EENSt9enable_ifIXntsr10test_utilsE35device_test_enabled_for_warp_size_vIXT1_EEEvE4typeEPT_S4_i
    .private_segment_fixed_size: 0
    .sgpr_count:     0
    .sgpr_spill_count: 0
    .symbol:         _Z24warp_reduce_valid_kernelIfLj1ELj37EENSt9enable_ifIXntsr10test_utilsE35device_test_enabled_for_warp_size_vIXT1_EEEvE4typeEPT_S4_i.kd
    .uniform_work_group_size: 1
    .uses_dynamic_stack: false
    .vgpr_count:     0
    .vgpr_spill_count: 0
    .wavefront_size: 32
    .workgroup_processor_mode: 1
  - .args:
      - .address_space:  global
        .offset:         0
        .size:           8
        .value_kind:     global_buffer
      - .address_space:  global
        .offset:         8
        .size:           8
        .value_kind:     global_buffer
      - .offset:         16
        .size:           4
        .value_kind:     by_value
    .group_segment_fixed_size: 0
    .kernarg_segment_align: 8
    .kernarg_segment_size: 20
    .language:       OpenCL C
    .language_version:
      - 2
      - 0
    .max_flat_workgroup_size: 37
    .name:           _Z24warp_reduce_valid_kernelIfLj37ELj37EENSt9enable_ifIXntsr10test_utilsE35device_test_enabled_for_warp_size_vIXT1_EEEvE4typeEPT_S4_i
    .private_segment_fixed_size: 0
    .sgpr_count:     0
    .sgpr_spill_count: 0
    .symbol:         _Z24warp_reduce_valid_kernelIfLj37ELj37EENSt9enable_ifIXntsr10test_utilsE35device_test_enabled_for_warp_size_vIXT1_EEEvE4typeEPT_S4_i.kd
    .uniform_work_group_size: 1
    .uses_dynamic_stack: false
    .vgpr_count:     0
    .vgpr_spill_count: 0
    .wavefront_size: 32
    .workgroup_processor_mode: 1
  - .args:
      - .address_space:  global
        .offset:         0
        .size:           8
        .value_kind:     global_buffer
      - .address_space:  global
        .offset:         8
        .size:           8
        .value_kind:     global_buffer
      - .offset:         16
        .size:           4
        .value_kind:     by_value
      - .offset:         24
        .size:           4
        .value_kind:     hidden_block_count_x
      - .offset:         28
        .size:           4
        .value_kind:     hidden_block_count_y
      - .offset:         32
        .size:           4
        .value_kind:     hidden_block_count_z
      - .offset:         36
        .size:           2
        .value_kind:     hidden_group_size_x
      - .offset:         38
        .size:           2
        .value_kind:     hidden_group_size_y
      - .offset:         40
        .size:           2
        .value_kind:     hidden_group_size_z
      - .offset:         42
        .size:           2
        .value_kind:     hidden_remainder_x
      - .offset:         44
        .size:           2
        .value_kind:     hidden_remainder_y
      - .offset:         46
        .size:           2
        .value_kind:     hidden_remainder_z
      - .offset:         64
        .size:           8
        .value_kind:     hidden_global_offset_x
      - .offset:         72
        .size:           8
        .value_kind:     hidden_global_offset_y
      - .offset:         80
        .size:           8
        .value_kind:     hidden_global_offset_z
      - .offset:         88
        .size:           2
        .value_kind:     hidden_grid_dims
    .group_segment_fixed_size: 120
    .kernarg_segment_align: 8
    .kernarg_segment_size: 280
    .language:       OpenCL C
    .language_version:
      - 2
      - 0
    .max_flat_workgroup_size: 30
    .name:           _Z24warp_reduce_valid_kernelIfLj30ELj15EENSt9enable_ifIXsr10test_utilsE35device_test_enabled_for_warp_size_vIXT1_EEEvE4typeEPT_S4_i
    .private_segment_fixed_size: 0
    .sgpr_count:     18
    .sgpr_spill_count: 0
    .symbol:         _Z24warp_reduce_valid_kernelIfLj30ELj15EENSt9enable_ifIXsr10test_utilsE35device_test_enabled_for_warp_size_vIXT1_EEEvE4typeEPT_S4_i.kd
    .uniform_work_group_size: 1
    .uses_dynamic_stack: false
    .vgpr_count:     8
    .vgpr_spill_count: 0
    .wavefront_size: 32
    .workgroup_processor_mode: 1
  - .args:
      - .address_space:  global
        .offset:         0
        .size:           8
        .value_kind:     global_buffer
      - .address_space:  global
        .offset:         8
        .size:           8
        .value_kind:     global_buffer
      - .offset:         16
        .size:           4
        .value_kind:     by_value
      - .offset:         24
        .size:           4
        .value_kind:     hidden_block_count_x
      - .offset:         28
        .size:           4
        .value_kind:     hidden_block_count_y
      - .offset:         32
        .size:           4
        .value_kind:     hidden_block_count_z
      - .offset:         36
        .size:           2
        .value_kind:     hidden_group_size_x
      - .offset:         38
        .size:           2
        .value_kind:     hidden_group_size_y
      - .offset:         40
        .size:           2
        .value_kind:     hidden_group_size_z
      - .offset:         42
        .size:           2
        .value_kind:     hidden_remainder_x
      - .offset:         44
        .size:           2
        .value_kind:     hidden_remainder_y
      - .offset:         46
        .size:           2
        .value_kind:     hidden_remainder_z
      - .offset:         64
        .size:           8
        .value_kind:     hidden_global_offset_x
      - .offset:         72
        .size:           8
        .value_kind:     hidden_global_offset_y
      - .offset:         80
        .size:           8
        .value_kind:     hidden_global_offset_z
      - .offset:         88
        .size:           2
        .value_kind:     hidden_grid_dims
    .group_segment_fixed_size: 240
    .kernarg_segment_align: 8
    .kernarg_segment_size: 280
    .language:       OpenCL C
    .language_version:
      - 2
      - 0
    .max_flat_workgroup_size: 60
    .name:           _Z24warp_reduce_valid_kernelIfLj60ELj15EENSt9enable_ifIXsr10test_utilsE35device_test_enabled_for_warp_size_vIXT1_EEEvE4typeEPT_S4_i
    .private_segment_fixed_size: 0
    .sgpr_count:     18
    .sgpr_spill_count: 0
    .symbol:         _Z24warp_reduce_valid_kernelIfLj60ELj15EENSt9enable_ifIXsr10test_utilsE35device_test_enabled_for_warp_size_vIXT1_EEEvE4typeEPT_S4_i.kd
    .uniform_work_group_size: 1
    .uses_dynamic_stack: false
    .vgpr_count:     8
    .vgpr_spill_count: 0
    .wavefront_size: 32
    .workgroup_processor_mode: 1
  - .args:
      - .address_space:  global
        .offset:         0
        .size:           8
        .value_kind:     global_buffer
      - .address_space:  global
        .offset:         8
        .size:           8
        .value_kind:     global_buffer
      - .offset:         16
        .size:           4
        .value_kind:     by_value
      - .offset:         24
        .size:           4
        .value_kind:     hidden_block_count_x
      - .offset:         28
        .size:           4
        .value_kind:     hidden_block_count_y
      - .offset:         32
        .size:           4
        .value_kind:     hidden_block_count_z
      - .offset:         36
        .size:           2
        .value_kind:     hidden_group_size_x
      - .offset:         38
        .size:           2
        .value_kind:     hidden_group_size_y
      - .offset:         40
        .size:           2
        .value_kind:     hidden_group_size_z
      - .offset:         42
        .size:           2
        .value_kind:     hidden_remainder_x
      - .offset:         44
        .size:           2
        .value_kind:     hidden_remainder_y
      - .offset:         46
        .size:           2
        .value_kind:     hidden_remainder_z
      - .offset:         64
        .size:           8
        .value_kind:     hidden_global_offset_x
      - .offset:         72
        .size:           8
        .value_kind:     hidden_global_offset_y
      - .offset:         80
        .size:           8
        .value_kind:     hidden_global_offset_z
      - .offset:         88
        .size:           2
        .value_kind:     hidden_grid_dims
    .group_segment_fixed_size: 112
    .kernarg_segment_align: 8
    .kernarg_segment_size: 280
    .language:       OpenCL C
    .language_version:
      - 2
      - 0
    .max_flat_workgroup_size: 28
    .name:           _Z24warp_reduce_valid_kernelIfLj28ELj7EENSt9enable_ifIXsr10test_utilsE35device_test_enabled_for_warp_size_vIXT1_EEEvE4typeEPT_S4_i
    .private_segment_fixed_size: 0
    .sgpr_count:     18
    .sgpr_spill_count: 0
    .symbol:         _Z24warp_reduce_valid_kernelIfLj28ELj7EENSt9enable_ifIXsr10test_utilsE35device_test_enabled_for_warp_size_vIXT1_EEEvE4typeEPT_S4_i.kd
    .uniform_work_group_size: 1
    .uses_dynamic_stack: false
    .vgpr_count:     8
    .vgpr_spill_count: 0
    .wavefront_size: 32
    .workgroup_processor_mode: 1
  - .args:
      - .address_space:  global
        .offset:         0
        .size:           8
        .value_kind:     global_buffer
      - .address_space:  global
        .offset:         8
        .size:           8
        .value_kind:     global_buffer
      - .offset:         16
        .size:           4
        .value_kind:     by_value
      - .offset:         24
        .size:           4
        .value_kind:     hidden_block_count_x
      - .offset:         28
        .size:           4
        .value_kind:     hidden_block_count_y
      - .offset:         32
        .size:           4
        .value_kind:     hidden_block_count_z
      - .offset:         36
        .size:           2
        .value_kind:     hidden_group_size_x
      - .offset:         38
        .size:           2
        .value_kind:     hidden_group_size_y
      - .offset:         40
        .size:           2
        .value_kind:     hidden_group_size_z
      - .offset:         42
        .size:           2
        .value_kind:     hidden_remainder_x
      - .offset:         44
        .size:           2
        .value_kind:     hidden_remainder_y
      - .offset:         46
        .size:           2
        .value_kind:     hidden_remainder_z
      - .offset:         64
        .size:           8
        .value_kind:     hidden_global_offset_x
      - .offset:         72
        .size:           8
        .value_kind:     hidden_global_offset_y
      - .offset:         80
        .size:           8
        .value_kind:     hidden_global_offset_z
      - .offset:         88
        .size:           2
        .value_kind:     hidden_grid_dims
    .group_segment_fixed_size: 252
    .kernarg_segment_align: 8
    .kernarg_segment_size: 280
    .language:       OpenCL C
    .language_version:
      - 2
      - 0
    .max_flat_workgroup_size: 63
    .name:           _Z24warp_reduce_valid_kernelIfLj63ELj7EENSt9enable_ifIXsr10test_utilsE35device_test_enabled_for_warp_size_vIXT1_EEEvE4typeEPT_S4_i
    .private_segment_fixed_size: 0
    .sgpr_count:     18
    .sgpr_spill_count: 0
    .symbol:         _Z24warp_reduce_valid_kernelIfLj63ELj7EENSt9enable_ifIXsr10test_utilsE35device_test_enabled_for_warp_size_vIXT1_EEEvE4typeEPT_S4_i.kd
    .uniform_work_group_size: 1
    .uses_dynamic_stack: false
    .vgpr_count:     8
    .vgpr_spill_count: 0
    .wavefront_size: 32
    .workgroup_processor_mode: 1
  - .args:
      - .address_space:  global
        .offset:         0
        .size:           8
        .value_kind:     global_buffer
      - .address_space:  global
        .offset:         8
        .size:           8
        .value_kind:     global_buffer
      - .offset:         16
        .size:           4
        .value_kind:     by_value
      - .offset:         24
        .size:           4
        .value_kind:     hidden_block_count_x
      - .offset:         28
        .size:           4
        .value_kind:     hidden_block_count_y
      - .offset:         32
        .size:           4
        .value_kind:     hidden_block_count_z
      - .offset:         36
        .size:           2
        .value_kind:     hidden_group_size_x
      - .offset:         38
        .size:           2
        .value_kind:     hidden_group_size_y
      - .offset:         40
        .size:           2
        .value_kind:     hidden_group_size_z
      - .offset:         42
        .size:           2
        .value_kind:     hidden_remainder_x
      - .offset:         44
        .size:           2
        .value_kind:     hidden_remainder_y
      - .offset:         46
        .size:           2
        .value_kind:     hidden_remainder_z
      - .offset:         64
        .size:           8
        .value_kind:     hidden_global_offset_x
      - .offset:         72
        .size:           8
        .value_kind:     hidden_global_offset_y
      - .offset:         80
        .size:           8
        .value_kind:     hidden_global_offset_z
      - .offset:         88
        .size:           2
        .value_kind:     hidden_grid_dims
    .group_segment_fixed_size: 120
    .kernarg_segment_align: 8
    .kernarg_segment_size: 280
    .language:       OpenCL C
    .language_version:
      - 2
      - 0
    .max_flat_workgroup_size: 30
    .name:           _Z24warp_reduce_valid_kernelIfLj30ELj3EENSt9enable_ifIXsr10test_utilsE35device_test_enabled_for_warp_size_vIXT1_EEEvE4typeEPT_S4_i
    .private_segment_fixed_size: 0
    .sgpr_count:     18
    .sgpr_spill_count: 0
    .symbol:         _Z24warp_reduce_valid_kernelIfLj30ELj3EENSt9enable_ifIXsr10test_utilsE35device_test_enabled_for_warp_size_vIXT1_EEEvE4typeEPT_S4_i.kd
    .uniform_work_group_size: 1
    .uses_dynamic_stack: false
    .vgpr_count:     8
    .vgpr_spill_count: 0
    .wavefront_size: 32
    .workgroup_processor_mode: 1
  - .args:
      - .address_space:  global
        .offset:         0
        .size:           8
        .value_kind:     global_buffer
      - .address_space:  global
        .offset:         8
        .size:           8
        .value_kind:     global_buffer
      - .offset:         16
        .size:           4
        .value_kind:     by_value
      - .offset:         24
        .size:           4
        .value_kind:     hidden_block_count_x
      - .offset:         28
        .size:           4
        .value_kind:     hidden_block_count_y
      - .offset:         32
        .size:           4
        .value_kind:     hidden_block_count_z
      - .offset:         36
        .size:           2
        .value_kind:     hidden_group_size_x
      - .offset:         38
        .size:           2
        .value_kind:     hidden_group_size_y
      - .offset:         40
        .size:           2
        .value_kind:     hidden_group_size_z
      - .offset:         42
        .size:           2
        .value_kind:     hidden_remainder_x
      - .offset:         44
        .size:           2
        .value_kind:     hidden_remainder_y
      - .offset:         46
        .size:           2
        .value_kind:     hidden_remainder_z
      - .offset:         64
        .size:           8
        .value_kind:     hidden_global_offset_x
      - .offset:         72
        .size:           8
        .value_kind:     hidden_global_offset_y
      - .offset:         80
        .size:           8
        .value_kind:     hidden_global_offset_z
      - .offset:         88
        .size:           2
        .value_kind:     hidden_grid_dims
    .group_segment_fixed_size: 252
    .kernarg_segment_align: 8
    .kernarg_segment_size: 280
    .language:       OpenCL C
    .language_version:
      - 2
      - 0
    .max_flat_workgroup_size: 63
    .name:           _Z24warp_reduce_valid_kernelIfLj63ELj3EENSt9enable_ifIXsr10test_utilsE35device_test_enabled_for_warp_size_vIXT1_EEEvE4typeEPT_S4_i
    .private_segment_fixed_size: 0
    .sgpr_count:     18
    .sgpr_spill_count: 0
    .symbol:         _Z24warp_reduce_valid_kernelIfLj63ELj3EENSt9enable_ifIXsr10test_utilsE35device_test_enabled_for_warp_size_vIXT1_EEEvE4typeEPT_S4_i.kd
    .uniform_work_group_size: 1
    .uses_dynamic_stack: false
    .vgpr_count:     8
    .vgpr_spill_count: 0
    .wavefront_size: 32
    .workgroup_processor_mode: 1
  - .args:
      - .address_space:  global
        .offset:         0
        .size:           8
        .value_kind:     global_buffer
      - .address_space:  global
        .offset:         8
        .size:           8
        .value_kind:     global_buffer
      - .offset:         16
        .size:           4
        .value_kind:     by_value
    .group_segment_fixed_size: 0
    .kernarg_segment_align: 8
    .kernarg_segment_size: 20
    .language:       OpenCL C
    .language_version:
      - 2
      - 0
    .max_flat_workgroup_size: 1
    .name:           _Z24warp_reduce_valid_kernelIiLj1ELj61EENSt9enable_ifIXntsr10test_utilsE35device_test_enabled_for_warp_size_vIXT1_EEEvE4typeEPT_S4_i
    .private_segment_fixed_size: 0
    .sgpr_count:     0
    .sgpr_spill_count: 0
    .symbol:         _Z24warp_reduce_valid_kernelIiLj1ELj61EENSt9enable_ifIXntsr10test_utilsE35device_test_enabled_for_warp_size_vIXT1_EEEvE4typeEPT_S4_i.kd
    .uniform_work_group_size: 1
    .uses_dynamic_stack: false
    .vgpr_count:     0
    .vgpr_spill_count: 0
    .wavefront_size: 32
    .workgroup_processor_mode: 1
  - .args:
      - .address_space:  global
        .offset:         0
        .size:           8
        .value_kind:     global_buffer
      - .address_space:  global
        .offset:         8
        .size:           8
        .value_kind:     global_buffer
      - .offset:         16
        .size:           4
        .value_kind:     by_value
    .group_segment_fixed_size: 0
    .kernarg_segment_align: 8
    .kernarg_segment_size: 20
    .language:       OpenCL C
    .language_version:
      - 2
      - 0
    .max_flat_workgroup_size: 61
    .name:           _Z24warp_reduce_valid_kernelIiLj61ELj61EENSt9enable_ifIXntsr10test_utilsE35device_test_enabled_for_warp_size_vIXT1_EEEvE4typeEPT_S4_i
    .private_segment_fixed_size: 0
    .sgpr_count:     0
    .sgpr_spill_count: 0
    .symbol:         _Z24warp_reduce_valid_kernelIiLj61ELj61EENSt9enable_ifIXntsr10test_utilsE35device_test_enabled_for_warp_size_vIXT1_EEEvE4typeEPT_S4_i.kd
    .uniform_work_group_size: 1
    .uses_dynamic_stack: false
    .vgpr_count:     0
    .vgpr_spill_count: 0
    .wavefront_size: 32
    .workgroup_processor_mode: 1
  - .args:
      - .address_space:  global
        .offset:         0
        .size:           8
        .value_kind:     global_buffer
      - .address_space:  global
        .offset:         8
        .size:           8
        .value_kind:     global_buffer
      - .offset:         16
        .size:           4
        .value_kind:     by_value
    .group_segment_fixed_size: 0
    .kernarg_segment_align: 8
    .kernarg_segment_size: 20
    .language:       OpenCL C
    .language_version:
      - 2
      - 0
    .max_flat_workgroup_size: 1
    .name:           _Z24warp_reduce_valid_kernelIiLj1ELj37EENSt9enable_ifIXntsr10test_utilsE35device_test_enabled_for_warp_size_vIXT1_EEEvE4typeEPT_S4_i
    .private_segment_fixed_size: 0
    .sgpr_count:     0
    .sgpr_spill_count: 0
    .symbol:         _Z24warp_reduce_valid_kernelIiLj1ELj37EENSt9enable_ifIXntsr10test_utilsE35device_test_enabled_for_warp_size_vIXT1_EEEvE4typeEPT_S4_i.kd
    .uniform_work_group_size: 1
    .uses_dynamic_stack: false
    .vgpr_count:     0
    .vgpr_spill_count: 0
    .wavefront_size: 32
    .workgroup_processor_mode: 1
  - .args:
      - .address_space:  global
        .offset:         0
        .size:           8
        .value_kind:     global_buffer
      - .address_space:  global
        .offset:         8
        .size:           8
        .value_kind:     global_buffer
      - .offset:         16
        .size:           4
        .value_kind:     by_value
    .group_segment_fixed_size: 0
    .kernarg_segment_align: 8
    .kernarg_segment_size: 20
    .language:       OpenCL C
    .language_version:
      - 2
      - 0
    .max_flat_workgroup_size: 37
    .name:           _Z24warp_reduce_valid_kernelIiLj37ELj37EENSt9enable_ifIXntsr10test_utilsE35device_test_enabled_for_warp_size_vIXT1_EEEvE4typeEPT_S4_i
    .private_segment_fixed_size: 0
    .sgpr_count:     0
    .sgpr_spill_count: 0
    .symbol:         _Z24warp_reduce_valid_kernelIiLj37ELj37EENSt9enable_ifIXntsr10test_utilsE35device_test_enabled_for_warp_size_vIXT1_EEEvE4typeEPT_S4_i.kd
    .uniform_work_group_size: 1
    .uses_dynamic_stack: false
    .vgpr_count:     0
    .vgpr_spill_count: 0
    .wavefront_size: 32
    .workgroup_processor_mode: 1
  - .args:
      - .address_space:  global
        .offset:         0
        .size:           8
        .value_kind:     global_buffer
      - .address_space:  global
        .offset:         8
        .size:           8
        .value_kind:     global_buffer
      - .offset:         16
        .size:           4
        .value_kind:     by_value
      - .offset:         24
        .size:           4
        .value_kind:     hidden_block_count_x
      - .offset:         28
        .size:           4
        .value_kind:     hidden_block_count_y
      - .offset:         32
        .size:           4
        .value_kind:     hidden_block_count_z
      - .offset:         36
        .size:           2
        .value_kind:     hidden_group_size_x
      - .offset:         38
        .size:           2
        .value_kind:     hidden_group_size_y
      - .offset:         40
        .size:           2
        .value_kind:     hidden_group_size_z
      - .offset:         42
        .size:           2
        .value_kind:     hidden_remainder_x
      - .offset:         44
        .size:           2
        .value_kind:     hidden_remainder_y
      - .offset:         46
        .size:           2
        .value_kind:     hidden_remainder_z
      - .offset:         64
        .size:           8
        .value_kind:     hidden_global_offset_x
      - .offset:         72
        .size:           8
        .value_kind:     hidden_global_offset_y
      - .offset:         80
        .size:           8
        .value_kind:     hidden_global_offset_z
      - .offset:         88
        .size:           2
        .value_kind:     hidden_grid_dims
    .group_segment_fixed_size: 120
    .kernarg_segment_align: 8
    .kernarg_segment_size: 280
    .language:       OpenCL C
    .language_version:
      - 2
      - 0
    .max_flat_workgroup_size: 30
    .name:           _Z24warp_reduce_valid_kernelIiLj30ELj15EENSt9enable_ifIXsr10test_utilsE35device_test_enabled_for_warp_size_vIXT1_EEEvE4typeEPT_S4_i
    .private_segment_fixed_size: 0
    .sgpr_count:     18
    .sgpr_spill_count: 0
    .symbol:         _Z24warp_reduce_valid_kernelIiLj30ELj15EENSt9enable_ifIXsr10test_utilsE35device_test_enabled_for_warp_size_vIXT1_EEEvE4typeEPT_S4_i.kd
    .uniform_work_group_size: 1
    .uses_dynamic_stack: false
    .vgpr_count:     8
    .vgpr_spill_count: 0
    .wavefront_size: 32
    .workgroup_processor_mode: 1
  - .args:
      - .address_space:  global
        .offset:         0
        .size:           8
        .value_kind:     global_buffer
      - .address_space:  global
        .offset:         8
        .size:           8
        .value_kind:     global_buffer
      - .offset:         16
        .size:           4
        .value_kind:     by_value
      - .offset:         24
        .size:           4
        .value_kind:     hidden_block_count_x
      - .offset:         28
        .size:           4
        .value_kind:     hidden_block_count_y
      - .offset:         32
        .size:           4
        .value_kind:     hidden_block_count_z
      - .offset:         36
        .size:           2
        .value_kind:     hidden_group_size_x
      - .offset:         38
        .size:           2
        .value_kind:     hidden_group_size_y
      - .offset:         40
        .size:           2
        .value_kind:     hidden_group_size_z
      - .offset:         42
        .size:           2
        .value_kind:     hidden_remainder_x
      - .offset:         44
        .size:           2
        .value_kind:     hidden_remainder_y
      - .offset:         46
        .size:           2
        .value_kind:     hidden_remainder_z
      - .offset:         64
        .size:           8
        .value_kind:     hidden_global_offset_x
      - .offset:         72
        .size:           8
        .value_kind:     hidden_global_offset_y
      - .offset:         80
        .size:           8
        .value_kind:     hidden_global_offset_z
      - .offset:         88
        .size:           2
        .value_kind:     hidden_grid_dims
    .group_segment_fixed_size: 240
    .kernarg_segment_align: 8
    .kernarg_segment_size: 280
    .language:       OpenCL C
    .language_version:
      - 2
      - 0
    .max_flat_workgroup_size: 60
    .name:           _Z24warp_reduce_valid_kernelIiLj60ELj15EENSt9enable_ifIXsr10test_utilsE35device_test_enabled_for_warp_size_vIXT1_EEEvE4typeEPT_S4_i
    .private_segment_fixed_size: 0
    .sgpr_count:     18
    .sgpr_spill_count: 0
    .symbol:         _Z24warp_reduce_valid_kernelIiLj60ELj15EENSt9enable_ifIXsr10test_utilsE35device_test_enabled_for_warp_size_vIXT1_EEEvE4typeEPT_S4_i.kd
    .uniform_work_group_size: 1
    .uses_dynamic_stack: false
    .vgpr_count:     8
    .vgpr_spill_count: 0
    .wavefront_size: 32
    .workgroup_processor_mode: 1
  - .args:
      - .address_space:  global
        .offset:         0
        .size:           8
        .value_kind:     global_buffer
      - .address_space:  global
        .offset:         8
        .size:           8
        .value_kind:     global_buffer
      - .offset:         16
        .size:           4
        .value_kind:     by_value
      - .offset:         24
        .size:           4
        .value_kind:     hidden_block_count_x
      - .offset:         28
        .size:           4
        .value_kind:     hidden_block_count_y
      - .offset:         32
        .size:           4
        .value_kind:     hidden_block_count_z
      - .offset:         36
        .size:           2
        .value_kind:     hidden_group_size_x
      - .offset:         38
        .size:           2
        .value_kind:     hidden_group_size_y
      - .offset:         40
        .size:           2
        .value_kind:     hidden_group_size_z
      - .offset:         42
        .size:           2
        .value_kind:     hidden_remainder_x
      - .offset:         44
        .size:           2
        .value_kind:     hidden_remainder_y
      - .offset:         46
        .size:           2
        .value_kind:     hidden_remainder_z
      - .offset:         64
        .size:           8
        .value_kind:     hidden_global_offset_x
      - .offset:         72
        .size:           8
        .value_kind:     hidden_global_offset_y
      - .offset:         80
        .size:           8
        .value_kind:     hidden_global_offset_z
      - .offset:         88
        .size:           2
        .value_kind:     hidden_grid_dims
    .group_segment_fixed_size: 112
    .kernarg_segment_align: 8
    .kernarg_segment_size: 280
    .language:       OpenCL C
    .language_version:
      - 2
      - 0
    .max_flat_workgroup_size: 28
    .name:           _Z24warp_reduce_valid_kernelIiLj28ELj7EENSt9enable_ifIXsr10test_utilsE35device_test_enabled_for_warp_size_vIXT1_EEEvE4typeEPT_S4_i
    .private_segment_fixed_size: 0
    .sgpr_count:     18
    .sgpr_spill_count: 0
    .symbol:         _Z24warp_reduce_valid_kernelIiLj28ELj7EENSt9enable_ifIXsr10test_utilsE35device_test_enabled_for_warp_size_vIXT1_EEEvE4typeEPT_S4_i.kd
    .uniform_work_group_size: 1
    .uses_dynamic_stack: false
    .vgpr_count:     8
    .vgpr_spill_count: 0
    .wavefront_size: 32
    .workgroup_processor_mode: 1
  - .args:
      - .address_space:  global
        .offset:         0
        .size:           8
        .value_kind:     global_buffer
      - .address_space:  global
        .offset:         8
        .size:           8
        .value_kind:     global_buffer
      - .offset:         16
        .size:           4
        .value_kind:     by_value
      - .offset:         24
        .size:           4
        .value_kind:     hidden_block_count_x
      - .offset:         28
        .size:           4
        .value_kind:     hidden_block_count_y
      - .offset:         32
        .size:           4
        .value_kind:     hidden_block_count_z
      - .offset:         36
        .size:           2
        .value_kind:     hidden_group_size_x
      - .offset:         38
        .size:           2
        .value_kind:     hidden_group_size_y
      - .offset:         40
        .size:           2
        .value_kind:     hidden_group_size_z
      - .offset:         42
        .size:           2
        .value_kind:     hidden_remainder_x
      - .offset:         44
        .size:           2
        .value_kind:     hidden_remainder_y
      - .offset:         46
        .size:           2
        .value_kind:     hidden_remainder_z
      - .offset:         64
        .size:           8
        .value_kind:     hidden_global_offset_x
      - .offset:         72
        .size:           8
        .value_kind:     hidden_global_offset_y
      - .offset:         80
        .size:           8
        .value_kind:     hidden_global_offset_z
      - .offset:         88
        .size:           2
        .value_kind:     hidden_grid_dims
    .group_segment_fixed_size: 252
    .kernarg_segment_align: 8
    .kernarg_segment_size: 280
    .language:       OpenCL C
    .language_version:
      - 2
      - 0
    .max_flat_workgroup_size: 63
    .name:           _Z24warp_reduce_valid_kernelIiLj63ELj7EENSt9enable_ifIXsr10test_utilsE35device_test_enabled_for_warp_size_vIXT1_EEEvE4typeEPT_S4_i
    .private_segment_fixed_size: 0
    .sgpr_count:     18
    .sgpr_spill_count: 0
    .symbol:         _Z24warp_reduce_valid_kernelIiLj63ELj7EENSt9enable_ifIXsr10test_utilsE35device_test_enabled_for_warp_size_vIXT1_EEEvE4typeEPT_S4_i.kd
    .uniform_work_group_size: 1
    .uses_dynamic_stack: false
    .vgpr_count:     8
    .vgpr_spill_count: 0
    .wavefront_size: 32
    .workgroup_processor_mode: 1
  - .args:
      - .address_space:  global
        .offset:         0
        .size:           8
        .value_kind:     global_buffer
      - .address_space:  global
        .offset:         8
        .size:           8
        .value_kind:     global_buffer
      - .offset:         16
        .size:           4
        .value_kind:     by_value
      - .offset:         24
        .size:           4
        .value_kind:     hidden_block_count_x
      - .offset:         28
        .size:           4
        .value_kind:     hidden_block_count_y
      - .offset:         32
        .size:           4
        .value_kind:     hidden_block_count_z
      - .offset:         36
        .size:           2
        .value_kind:     hidden_group_size_x
      - .offset:         38
        .size:           2
        .value_kind:     hidden_group_size_y
      - .offset:         40
        .size:           2
        .value_kind:     hidden_group_size_z
      - .offset:         42
        .size:           2
        .value_kind:     hidden_remainder_x
      - .offset:         44
        .size:           2
        .value_kind:     hidden_remainder_y
      - .offset:         46
        .size:           2
        .value_kind:     hidden_remainder_z
      - .offset:         64
        .size:           8
        .value_kind:     hidden_global_offset_x
      - .offset:         72
        .size:           8
        .value_kind:     hidden_global_offset_y
      - .offset:         80
        .size:           8
        .value_kind:     hidden_global_offset_z
      - .offset:         88
        .size:           2
        .value_kind:     hidden_grid_dims
    .group_segment_fixed_size: 120
    .kernarg_segment_align: 8
    .kernarg_segment_size: 280
    .language:       OpenCL C
    .language_version:
      - 2
      - 0
    .max_flat_workgroup_size: 30
    .name:           _Z24warp_reduce_valid_kernelIiLj30ELj3EENSt9enable_ifIXsr10test_utilsE35device_test_enabled_for_warp_size_vIXT1_EEEvE4typeEPT_S4_i
    .private_segment_fixed_size: 0
    .sgpr_count:     18
    .sgpr_spill_count: 0
    .symbol:         _Z24warp_reduce_valid_kernelIiLj30ELj3EENSt9enable_ifIXsr10test_utilsE35device_test_enabled_for_warp_size_vIXT1_EEEvE4typeEPT_S4_i.kd
    .uniform_work_group_size: 1
    .uses_dynamic_stack: false
    .vgpr_count:     8
    .vgpr_spill_count: 0
    .wavefront_size: 32
    .workgroup_processor_mode: 1
  - .args:
      - .address_space:  global
        .offset:         0
        .size:           8
        .value_kind:     global_buffer
      - .address_space:  global
        .offset:         8
        .size:           8
        .value_kind:     global_buffer
      - .offset:         16
        .size:           4
        .value_kind:     by_value
      - .offset:         24
        .size:           4
        .value_kind:     hidden_block_count_x
      - .offset:         28
        .size:           4
        .value_kind:     hidden_block_count_y
      - .offset:         32
        .size:           4
        .value_kind:     hidden_block_count_z
      - .offset:         36
        .size:           2
        .value_kind:     hidden_group_size_x
      - .offset:         38
        .size:           2
        .value_kind:     hidden_group_size_y
      - .offset:         40
        .size:           2
        .value_kind:     hidden_group_size_z
      - .offset:         42
        .size:           2
        .value_kind:     hidden_remainder_x
      - .offset:         44
        .size:           2
        .value_kind:     hidden_remainder_y
      - .offset:         46
        .size:           2
        .value_kind:     hidden_remainder_z
      - .offset:         64
        .size:           8
        .value_kind:     hidden_global_offset_x
      - .offset:         72
        .size:           8
        .value_kind:     hidden_global_offset_y
      - .offset:         80
        .size:           8
        .value_kind:     hidden_global_offset_z
      - .offset:         88
        .size:           2
        .value_kind:     hidden_grid_dims
    .group_segment_fixed_size: 252
    .kernarg_segment_align: 8
    .kernarg_segment_size: 280
    .language:       OpenCL C
    .language_version:
      - 2
      - 0
    .max_flat_workgroup_size: 63
    .name:           _Z24warp_reduce_valid_kernelIiLj63ELj3EENSt9enable_ifIXsr10test_utilsE35device_test_enabled_for_warp_size_vIXT1_EEEvE4typeEPT_S4_i
    .private_segment_fixed_size: 0
    .sgpr_count:     18
    .sgpr_spill_count: 0
    .symbol:         _Z24warp_reduce_valid_kernelIiLj63ELj3EENSt9enable_ifIXsr10test_utilsE35device_test_enabled_for_warp_size_vIXT1_EEEvE4typeEPT_S4_i.kd
    .uniform_work_group_size: 1
    .uses_dynamic_stack: false
    .vgpr_count:     8
    .vgpr_spill_count: 0
    .wavefront_size: 32
    .workgroup_processor_mode: 1
  - .args:
      - .address_space:  global
        .offset:         0
        .size:           8
        .value_kind:     global_buffer
      - .address_space:  global
        .offset:         8
        .size:           8
        .value_kind:     global_buffer
      - .offset:         16
        .size:           4
        .value_kind:     by_value
    .group_segment_fixed_size: 0
    .kernarg_segment_align: 8
    .kernarg_segment_size: 20
    .language:       OpenCL C
    .language_version:
      - 2
      - 0
    .max_flat_workgroup_size: 256
    .name:           _Z24warp_reduce_valid_kernelI12hip_bfloat16Lj256ELj64EENSt9enable_ifIXntsr10test_utilsE35device_test_enabled_for_warp_size_vIXT1_EEEvE4typeEPT_S5_i
    .private_segment_fixed_size: 0
    .sgpr_count:     0
    .sgpr_spill_count: 0
    .symbol:         _Z24warp_reduce_valid_kernelI12hip_bfloat16Lj256ELj64EENSt9enable_ifIXntsr10test_utilsE35device_test_enabled_for_warp_size_vIXT1_EEEvE4typeEPT_S5_i.kd
    .uniform_work_group_size: 1
    .uses_dynamic_stack: false
    .vgpr_count:     0
    .vgpr_spill_count: 0
    .wavefront_size: 32
    .workgroup_processor_mode: 1
  - .args:
      - .address_space:  global
        .offset:         0
        .size:           8
        .value_kind:     global_buffer
      - .address_space:  global
        .offset:         8
        .size:           8
        .value_kind:     global_buffer
      - .offset:         16
        .size:           4
        .value_kind:     by_value
      - .offset:         24
        .size:           4
        .value_kind:     hidden_block_count_x
      - .offset:         28
        .size:           4
        .value_kind:     hidden_block_count_y
      - .offset:         32
        .size:           4
        .value_kind:     hidden_block_count_z
      - .offset:         36
        .size:           2
        .value_kind:     hidden_group_size_x
      - .offset:         38
        .size:           2
        .value_kind:     hidden_group_size_y
      - .offset:         40
        .size:           2
        .value_kind:     hidden_group_size_z
      - .offset:         42
        .size:           2
        .value_kind:     hidden_remainder_x
      - .offset:         44
        .size:           2
        .value_kind:     hidden_remainder_y
      - .offset:         46
        .size:           2
        .value_kind:     hidden_remainder_z
      - .offset:         64
        .size:           8
        .value_kind:     hidden_global_offset_x
      - .offset:         72
        .size:           8
        .value_kind:     hidden_global_offset_y
      - .offset:         80
        .size:           8
        .value_kind:     hidden_global_offset_z
      - .offset:         88
        .size:           2
        .value_kind:     hidden_grid_dims
    .group_segment_fixed_size: 0
    .kernarg_segment_align: 8
    .kernarg_segment_size: 280
    .language:       OpenCL C
    .language_version:
      - 2
      - 0
    .max_flat_workgroup_size: 128
    .name:           _Z24warp_reduce_valid_kernelI12hip_bfloat16Lj128ELj32EENSt9enable_ifIXsr10test_utilsE35device_test_enabled_for_warp_size_vIXT1_EEEvE4typeEPT_S5_i
    .private_segment_fixed_size: 0
    .sgpr_count:     18
    .sgpr_spill_count: 0
    .symbol:         _Z24warp_reduce_valid_kernelI12hip_bfloat16Lj128ELj32EENSt9enable_ifIXsr10test_utilsE35device_test_enabled_for_warp_size_vIXT1_EEEvE4typeEPT_S5_i.kd
    .uniform_work_group_size: 1
    .uses_dynamic_stack: false
    .vgpr_count:     7
    .vgpr_spill_count: 0
    .wavefront_size: 32
    .workgroup_processor_mode: 1
  - .args:
      - .address_space:  global
        .offset:         0
        .size:           8
        .value_kind:     global_buffer
      - .address_space:  global
        .offset:         8
        .size:           8
        .value_kind:     global_buffer
      - .offset:         16
        .size:           4
        .value_kind:     by_value
      - .offset:         24
        .size:           4
        .value_kind:     hidden_block_count_x
      - .offset:         28
        .size:           4
        .value_kind:     hidden_block_count_y
      - .offset:         32
        .size:           4
        .value_kind:     hidden_block_count_z
      - .offset:         36
        .size:           2
        .value_kind:     hidden_group_size_x
      - .offset:         38
        .size:           2
        .value_kind:     hidden_group_size_y
      - .offset:         40
        .size:           2
        .value_kind:     hidden_group_size_z
      - .offset:         42
        .size:           2
        .value_kind:     hidden_remainder_x
      - .offset:         44
        .size:           2
        .value_kind:     hidden_remainder_y
      - .offset:         46
        .size:           2
        .value_kind:     hidden_remainder_z
      - .offset:         64
        .size:           8
        .value_kind:     hidden_global_offset_x
      - .offset:         72
        .size:           8
        .value_kind:     hidden_global_offset_y
      - .offset:         80
        .size:           8
        .value_kind:     hidden_global_offset_z
      - .offset:         88
        .size:           2
        .value_kind:     hidden_grid_dims
    .group_segment_fixed_size: 0
    .kernarg_segment_align: 8
    .kernarg_segment_size: 280
    .language:       OpenCL C
    .language_version:
      - 2
      - 0
    .max_flat_workgroup_size: 64
    .name:           _Z24warp_reduce_valid_kernelI12hip_bfloat16Lj64ELj16EENSt9enable_ifIXsr10test_utilsE35device_test_enabled_for_warp_size_vIXT1_EEEvE4typeEPT_S5_i
    .private_segment_fixed_size: 0
    .sgpr_count:     18
    .sgpr_spill_count: 0
    .symbol:         _Z24warp_reduce_valid_kernelI12hip_bfloat16Lj64ELj16EENSt9enable_ifIXsr10test_utilsE35device_test_enabled_for_warp_size_vIXT1_EEEvE4typeEPT_S5_i.kd
    .uniform_work_group_size: 1
    .uses_dynamic_stack: false
    .vgpr_count:     8
    .vgpr_spill_count: 0
    .wavefront_size: 32
    .workgroup_processor_mode: 1
  - .args:
      - .address_space:  global
        .offset:         0
        .size:           8
        .value_kind:     global_buffer
      - .address_space:  global
        .offset:         8
        .size:           8
        .value_kind:     global_buffer
      - .offset:         16
        .size:           4
        .value_kind:     by_value
      - .offset:         24
        .size:           4
        .value_kind:     hidden_block_count_x
      - .offset:         28
        .size:           4
        .value_kind:     hidden_block_count_y
      - .offset:         32
        .size:           4
        .value_kind:     hidden_block_count_z
      - .offset:         36
        .size:           2
        .value_kind:     hidden_group_size_x
      - .offset:         38
        .size:           2
        .value_kind:     hidden_group_size_y
      - .offset:         40
        .size:           2
        .value_kind:     hidden_group_size_z
      - .offset:         42
        .size:           2
        .value_kind:     hidden_remainder_x
      - .offset:         44
        .size:           2
        .value_kind:     hidden_remainder_y
      - .offset:         46
        .size:           2
        .value_kind:     hidden_remainder_z
      - .offset:         64
        .size:           8
        .value_kind:     hidden_global_offset_x
      - .offset:         72
        .size:           8
        .value_kind:     hidden_global_offset_y
      - .offset:         80
        .size:           8
        .value_kind:     hidden_global_offset_z
      - .offset:         88
        .size:           2
        .value_kind:     hidden_grid_dims
    .group_segment_fixed_size: 0
    .kernarg_segment_align: 8
    .kernarg_segment_size: 280
    .language:       OpenCL C
    .language_version:
      - 2
      - 0
    .max_flat_workgroup_size: 32
    .name:           _Z24warp_reduce_valid_kernelI12hip_bfloat16Lj32ELj8EENSt9enable_ifIXsr10test_utilsE35device_test_enabled_for_warp_size_vIXT1_EEEvE4typeEPT_S5_i
    .private_segment_fixed_size: 0
    .sgpr_count:     18
    .sgpr_spill_count: 0
    .symbol:         _Z24warp_reduce_valid_kernelI12hip_bfloat16Lj32ELj8EENSt9enable_ifIXsr10test_utilsE35device_test_enabled_for_warp_size_vIXT1_EEEvE4typeEPT_S5_i.kd
    .uniform_work_group_size: 1
    .uses_dynamic_stack: false
    .vgpr_count:     8
    .vgpr_spill_count: 0
    .wavefront_size: 32
    .workgroup_processor_mode: 1
  - .args:
      - .address_space:  global
        .offset:         0
        .size:           8
        .value_kind:     global_buffer
      - .address_space:  global
        .offset:         8
        .size:           8
        .value_kind:     global_buffer
      - .offset:         16
        .size:           4
        .value_kind:     by_value
      - .offset:         24
        .size:           4
        .value_kind:     hidden_block_count_x
      - .offset:         28
        .size:           4
        .value_kind:     hidden_block_count_y
      - .offset:         32
        .size:           4
        .value_kind:     hidden_block_count_z
      - .offset:         36
        .size:           2
        .value_kind:     hidden_group_size_x
      - .offset:         38
        .size:           2
        .value_kind:     hidden_group_size_y
      - .offset:         40
        .size:           2
        .value_kind:     hidden_group_size_z
      - .offset:         42
        .size:           2
        .value_kind:     hidden_remainder_x
      - .offset:         44
        .size:           2
        .value_kind:     hidden_remainder_y
      - .offset:         46
        .size:           2
        .value_kind:     hidden_remainder_z
      - .offset:         64
        .size:           8
        .value_kind:     hidden_global_offset_x
      - .offset:         72
        .size:           8
        .value_kind:     hidden_global_offset_y
      - .offset:         80
        .size:           8
        .value_kind:     hidden_global_offset_z
      - .offset:         88
        .size:           2
        .value_kind:     hidden_grid_dims
    .group_segment_fixed_size: 0
    .kernarg_segment_align: 8
    .kernarg_segment_size: 280
    .language:       OpenCL C
    .language_version:
      - 2
      - 0
    .max_flat_workgroup_size: 64
    .name:           _Z24warp_reduce_valid_kernelI12hip_bfloat16Lj64ELj8EENSt9enable_ifIXsr10test_utilsE35device_test_enabled_for_warp_size_vIXT1_EEEvE4typeEPT_S5_i
    .private_segment_fixed_size: 0
    .sgpr_count:     18
    .sgpr_spill_count: 0
    .symbol:         _Z24warp_reduce_valid_kernelI12hip_bfloat16Lj64ELj8EENSt9enable_ifIXsr10test_utilsE35device_test_enabled_for_warp_size_vIXT1_EEEvE4typeEPT_S5_i.kd
    .uniform_work_group_size: 1
    .uses_dynamic_stack: false
    .vgpr_count:     8
    .vgpr_spill_count: 0
    .wavefront_size: 32
    .workgroup_processor_mode: 1
  - .args:
      - .address_space:  global
        .offset:         0
        .size:           8
        .value_kind:     global_buffer
      - .address_space:  global
        .offset:         8
        .size:           8
        .value_kind:     global_buffer
      - .offset:         16
        .size:           4
        .value_kind:     by_value
      - .offset:         24
        .size:           4
        .value_kind:     hidden_block_count_x
      - .offset:         28
        .size:           4
        .value_kind:     hidden_block_count_y
      - .offset:         32
        .size:           4
        .value_kind:     hidden_block_count_z
      - .offset:         36
        .size:           2
        .value_kind:     hidden_group_size_x
      - .offset:         38
        .size:           2
        .value_kind:     hidden_group_size_y
      - .offset:         40
        .size:           2
        .value_kind:     hidden_group_size_z
      - .offset:         42
        .size:           2
        .value_kind:     hidden_remainder_x
      - .offset:         44
        .size:           2
        .value_kind:     hidden_remainder_y
      - .offset:         46
        .size:           2
        .value_kind:     hidden_remainder_z
      - .offset:         64
        .size:           8
        .value_kind:     hidden_global_offset_x
      - .offset:         72
        .size:           8
        .value_kind:     hidden_global_offset_y
      - .offset:         80
        .size:           8
        .value_kind:     hidden_global_offset_z
      - .offset:         88
        .size:           2
        .value_kind:     hidden_grid_dims
    .group_segment_fixed_size: 0
    .kernarg_segment_align: 8
    .kernarg_segment_size: 280
    .language:       OpenCL C
    .language_version:
      - 2
      - 0
    .max_flat_workgroup_size: 32
    .name:           _Z24warp_reduce_valid_kernelI12hip_bfloat16Lj32ELj4EENSt9enable_ifIXsr10test_utilsE35device_test_enabled_for_warp_size_vIXT1_EEEvE4typeEPT_S5_i
    .private_segment_fixed_size: 0
    .sgpr_count:     18
    .sgpr_spill_count: 0
    .symbol:         _Z24warp_reduce_valid_kernelI12hip_bfloat16Lj32ELj4EENSt9enable_ifIXsr10test_utilsE35device_test_enabled_for_warp_size_vIXT1_EEEvE4typeEPT_S5_i.kd
    .uniform_work_group_size: 1
    .uses_dynamic_stack: false
    .vgpr_count:     8
    .vgpr_spill_count: 0
    .wavefront_size: 32
    .workgroup_processor_mode: 1
  - .args:
      - .address_space:  global
        .offset:         0
        .size:           8
        .value_kind:     global_buffer
      - .address_space:  global
        .offset:         8
        .size:           8
        .value_kind:     global_buffer
      - .offset:         16
        .size:           4
        .value_kind:     by_value
      - .offset:         24
        .size:           4
        .value_kind:     hidden_block_count_x
      - .offset:         28
        .size:           4
        .value_kind:     hidden_block_count_y
      - .offset:         32
        .size:           4
        .value_kind:     hidden_block_count_z
      - .offset:         36
        .size:           2
        .value_kind:     hidden_group_size_x
      - .offset:         38
        .size:           2
        .value_kind:     hidden_group_size_y
      - .offset:         40
        .size:           2
        .value_kind:     hidden_group_size_z
      - .offset:         42
        .size:           2
        .value_kind:     hidden_remainder_x
      - .offset:         44
        .size:           2
        .value_kind:     hidden_remainder_y
      - .offset:         46
        .size:           2
        .value_kind:     hidden_remainder_z
      - .offset:         64
        .size:           8
        .value_kind:     hidden_global_offset_x
      - .offset:         72
        .size:           8
        .value_kind:     hidden_global_offset_y
      - .offset:         80
        .size:           8
        .value_kind:     hidden_global_offset_z
      - .offset:         88
        .size:           2
        .value_kind:     hidden_grid_dims
    .group_segment_fixed_size: 0
    .kernarg_segment_align: 8
    .kernarg_segment_size: 280
    .language:       OpenCL C
    .language_version:
      - 2
      - 0
    .max_flat_workgroup_size: 64
    .name:           _Z24warp_reduce_valid_kernelI12hip_bfloat16Lj64ELj4EENSt9enable_ifIXsr10test_utilsE35device_test_enabled_for_warp_size_vIXT1_EEEvE4typeEPT_S5_i
    .private_segment_fixed_size: 0
    .sgpr_count:     18
    .sgpr_spill_count: 0
    .symbol:         _Z24warp_reduce_valid_kernelI12hip_bfloat16Lj64ELj4EENSt9enable_ifIXsr10test_utilsE35device_test_enabled_for_warp_size_vIXT1_EEEvE4typeEPT_S5_i.kd
    .uniform_work_group_size: 1
    .uses_dynamic_stack: false
    .vgpr_count:     8
    .vgpr_spill_count: 0
    .wavefront_size: 32
    .workgroup_processor_mode: 1
  - .args:
      - .address_space:  global
        .offset:         0
        .size:           8
        .value_kind:     global_buffer
      - .address_space:  global
        .offset:         8
        .size:           8
        .value_kind:     global_buffer
      - .offset:         16
        .size:           4
        .value_kind:     by_value
      - .offset:         24
        .size:           4
        .value_kind:     hidden_block_count_x
      - .offset:         28
        .size:           4
        .value_kind:     hidden_block_count_y
      - .offset:         32
        .size:           4
        .value_kind:     hidden_block_count_z
      - .offset:         36
        .size:           2
        .value_kind:     hidden_group_size_x
      - .offset:         38
        .size:           2
        .value_kind:     hidden_group_size_y
      - .offset:         40
        .size:           2
        .value_kind:     hidden_group_size_z
      - .offset:         42
        .size:           2
        .value_kind:     hidden_remainder_x
      - .offset:         44
        .size:           2
        .value_kind:     hidden_remainder_y
      - .offset:         46
        .size:           2
        .value_kind:     hidden_remainder_z
      - .offset:         64
        .size:           8
        .value_kind:     hidden_global_offset_x
      - .offset:         72
        .size:           8
        .value_kind:     hidden_global_offset_y
      - .offset:         80
        .size:           8
        .value_kind:     hidden_global_offset_z
      - .offset:         88
        .size:           2
        .value_kind:     hidden_grid_dims
    .group_segment_fixed_size: 0
    .kernarg_segment_align: 8
    .kernarg_segment_size: 280
    .language:       OpenCL C
    .language_version:
      - 2
      - 0
    .max_flat_workgroup_size: 32
    .name:           _Z24warp_reduce_valid_kernelI12hip_bfloat16Lj32ELj2EENSt9enable_ifIXsr10test_utilsE35device_test_enabled_for_warp_size_vIXT1_EEEvE4typeEPT_S5_i
    .private_segment_fixed_size: 0
    .sgpr_count:     18
    .sgpr_spill_count: 0
    .symbol:         _Z24warp_reduce_valid_kernelI12hip_bfloat16Lj32ELj2EENSt9enable_ifIXsr10test_utilsE35device_test_enabled_for_warp_size_vIXT1_EEEvE4typeEPT_S5_i.kd
    .uniform_work_group_size: 1
    .uses_dynamic_stack: false
    .vgpr_count:     6
    .vgpr_spill_count: 0
    .wavefront_size: 32
    .workgroup_processor_mode: 1
  - .args:
      - .address_space:  global
        .offset:         0
        .size:           8
        .value_kind:     global_buffer
      - .address_space:  global
        .offset:         8
        .size:           8
        .value_kind:     global_buffer
      - .offset:         16
        .size:           4
        .value_kind:     by_value
      - .offset:         24
        .size:           4
        .value_kind:     hidden_block_count_x
      - .offset:         28
        .size:           4
        .value_kind:     hidden_block_count_y
      - .offset:         32
        .size:           4
        .value_kind:     hidden_block_count_z
      - .offset:         36
        .size:           2
        .value_kind:     hidden_group_size_x
      - .offset:         38
        .size:           2
        .value_kind:     hidden_group_size_y
      - .offset:         40
        .size:           2
        .value_kind:     hidden_group_size_z
      - .offset:         42
        .size:           2
        .value_kind:     hidden_remainder_x
      - .offset:         44
        .size:           2
        .value_kind:     hidden_remainder_y
      - .offset:         46
        .size:           2
        .value_kind:     hidden_remainder_z
      - .offset:         64
        .size:           8
        .value_kind:     hidden_global_offset_x
      - .offset:         72
        .size:           8
        .value_kind:     hidden_global_offset_y
      - .offset:         80
        .size:           8
        .value_kind:     hidden_global_offset_z
      - .offset:         88
        .size:           2
        .value_kind:     hidden_grid_dims
    .group_segment_fixed_size: 0
    .kernarg_segment_align: 8
    .kernarg_segment_size: 280
    .language:       OpenCL C
    .language_version:
      - 2
      - 0
    .max_flat_workgroup_size: 64
    .name:           _Z24warp_reduce_valid_kernelI12hip_bfloat16Lj64ELj2EENSt9enable_ifIXsr10test_utilsE35device_test_enabled_for_warp_size_vIXT1_EEEvE4typeEPT_S5_i
    .private_segment_fixed_size: 0
    .sgpr_count:     18
    .sgpr_spill_count: 0
    .symbol:         _Z24warp_reduce_valid_kernelI12hip_bfloat16Lj64ELj2EENSt9enable_ifIXsr10test_utilsE35device_test_enabled_for_warp_size_vIXT1_EEEvE4typeEPT_S5_i.kd
    .uniform_work_group_size: 1
    .uses_dynamic_stack: false
    .vgpr_count:     6
    .vgpr_spill_count: 0
    .wavefront_size: 32
    .workgroup_processor_mode: 1
  - .args:
      - .address_space:  global
        .offset:         0
        .size:           8
        .value_kind:     global_buffer
      - .address_space:  global
        .offset:         8
        .size:           8
        .value_kind:     global_buffer
      - .offset:         16
        .size:           4
        .value_kind:     by_value
      - .offset:         24
        .size:           4
        .value_kind:     hidden_block_count_x
      - .offset:         28
        .size:           4
        .value_kind:     hidden_block_count_y
      - .offset:         32
        .size:           4
        .value_kind:     hidden_block_count_z
      - .offset:         36
        .size:           2
        .value_kind:     hidden_group_size_x
      - .offset:         38
        .size:           2
        .value_kind:     hidden_group_size_y
      - .offset:         40
        .size:           2
        .value_kind:     hidden_group_size_z
      - .offset:         42
        .size:           2
        .value_kind:     hidden_remainder_x
      - .offset:         44
        .size:           2
        .value_kind:     hidden_remainder_y
      - .offset:         46
        .size:           2
        .value_kind:     hidden_remainder_z
      - .offset:         64
        .size:           8
        .value_kind:     hidden_global_offset_x
      - .offset:         72
        .size:           8
        .value_kind:     hidden_global_offset_y
      - .offset:         80
        .size:           8
        .value_kind:     hidden_global_offset_z
      - .offset:         88
        .size:           2
        .value_kind:     hidden_grid_dims
    .group_segment_fixed_size: 0
    .kernarg_segment_align: 8
    .kernarg_segment_size: 280
    .language:       OpenCL C
    .language_version:
      - 2
      - 0
    .max_flat_workgroup_size: 32
    .name:           _Z24warp_reduce_valid_kernelI12hip_bfloat16Lj32ELj1EENSt9enable_ifIXsr10test_utilsE35device_test_enabled_for_warp_size_vIXT1_EEEvE4typeEPT_S5_i
    .private_segment_fixed_size: 0
    .sgpr_count:     18
    .sgpr_spill_count: 0
    .symbol:         _Z24warp_reduce_valid_kernelI12hip_bfloat16Lj32ELj1EENSt9enable_ifIXsr10test_utilsE35device_test_enabled_for_warp_size_vIXT1_EEEvE4typeEPT_S5_i.kd
    .uniform_work_group_size: 1
    .uses_dynamic_stack: false
    .vgpr_count:     4
    .vgpr_spill_count: 0
    .wavefront_size: 32
    .workgroup_processor_mode: 1
  - .args:
      - .address_space:  global
        .offset:         0
        .size:           8
        .value_kind:     global_buffer
      - .address_space:  global
        .offset:         8
        .size:           8
        .value_kind:     global_buffer
      - .offset:         16
        .size:           4
        .value_kind:     by_value
      - .offset:         24
        .size:           4
        .value_kind:     hidden_block_count_x
      - .offset:         28
        .size:           4
        .value_kind:     hidden_block_count_y
      - .offset:         32
        .size:           4
        .value_kind:     hidden_block_count_z
      - .offset:         36
        .size:           2
        .value_kind:     hidden_group_size_x
      - .offset:         38
        .size:           2
        .value_kind:     hidden_group_size_y
      - .offset:         40
        .size:           2
        .value_kind:     hidden_group_size_z
      - .offset:         42
        .size:           2
        .value_kind:     hidden_remainder_x
      - .offset:         44
        .size:           2
        .value_kind:     hidden_remainder_y
      - .offset:         46
        .size:           2
        .value_kind:     hidden_remainder_z
      - .offset:         64
        .size:           8
        .value_kind:     hidden_global_offset_x
      - .offset:         72
        .size:           8
        .value_kind:     hidden_global_offset_y
      - .offset:         80
        .size:           8
        .value_kind:     hidden_global_offset_z
      - .offset:         88
        .size:           2
        .value_kind:     hidden_grid_dims
    .group_segment_fixed_size: 0
    .kernarg_segment_align: 8
    .kernarg_segment_size: 280
    .language:       OpenCL C
    .language_version:
      - 2
      - 0
    .max_flat_workgroup_size: 64
    .name:           _Z24warp_reduce_valid_kernelI12hip_bfloat16Lj64ELj1EENSt9enable_ifIXsr10test_utilsE35device_test_enabled_for_warp_size_vIXT1_EEEvE4typeEPT_S5_i
    .private_segment_fixed_size: 0
    .sgpr_count:     18
    .sgpr_spill_count: 0
    .symbol:         _Z24warp_reduce_valid_kernelI12hip_bfloat16Lj64ELj1EENSt9enable_ifIXsr10test_utilsE35device_test_enabled_for_warp_size_vIXT1_EEEvE4typeEPT_S5_i.kd
    .uniform_work_group_size: 1
    .uses_dynamic_stack: false
    .vgpr_count:     4
    .vgpr_spill_count: 0
    .wavefront_size: 32
    .workgroup_processor_mode: 1
  - .args:
      - .address_space:  global
        .offset:         0
        .size:           8
        .value_kind:     global_buffer
      - .address_space:  global
        .offset:         8
        .size:           8
        .value_kind:     global_buffer
      - .offset:         16
        .size:           4
        .value_kind:     by_value
    .group_segment_fixed_size: 0
    .kernarg_segment_align: 8
    .kernarg_segment_size: 20
    .language:       OpenCL C
    .language_version:
      - 2
      - 0
    .max_flat_workgroup_size: 256
    .name:           _Z24warp_reduce_valid_kernelI6__halfLj256ELj64EENSt9enable_ifIXntsr10test_utilsE35device_test_enabled_for_warp_size_vIXT1_EEEvE4typeEPT_S5_i
    .private_segment_fixed_size: 0
    .sgpr_count:     0
    .sgpr_spill_count: 0
    .symbol:         _Z24warp_reduce_valid_kernelI6__halfLj256ELj64EENSt9enable_ifIXntsr10test_utilsE35device_test_enabled_for_warp_size_vIXT1_EEEvE4typeEPT_S5_i.kd
    .uniform_work_group_size: 1
    .uses_dynamic_stack: false
    .vgpr_count:     0
    .vgpr_spill_count: 0
    .wavefront_size: 32
    .workgroup_processor_mode: 1
  - .args:
      - .address_space:  global
        .offset:         0
        .size:           8
        .value_kind:     global_buffer
      - .address_space:  global
        .offset:         8
        .size:           8
        .value_kind:     global_buffer
      - .offset:         16
        .size:           4
        .value_kind:     by_value
      - .offset:         24
        .size:           4
        .value_kind:     hidden_block_count_x
      - .offset:         28
        .size:           4
        .value_kind:     hidden_block_count_y
      - .offset:         32
        .size:           4
        .value_kind:     hidden_block_count_z
      - .offset:         36
        .size:           2
        .value_kind:     hidden_group_size_x
      - .offset:         38
        .size:           2
        .value_kind:     hidden_group_size_y
      - .offset:         40
        .size:           2
        .value_kind:     hidden_group_size_z
      - .offset:         42
        .size:           2
        .value_kind:     hidden_remainder_x
      - .offset:         44
        .size:           2
        .value_kind:     hidden_remainder_y
      - .offset:         46
        .size:           2
        .value_kind:     hidden_remainder_z
      - .offset:         64
        .size:           8
        .value_kind:     hidden_global_offset_x
      - .offset:         72
        .size:           8
        .value_kind:     hidden_global_offset_y
      - .offset:         80
        .size:           8
        .value_kind:     hidden_global_offset_z
      - .offset:         88
        .size:           2
        .value_kind:     hidden_grid_dims
    .group_segment_fixed_size: 0
    .kernarg_segment_align: 8
    .kernarg_segment_size: 280
    .language:       OpenCL C
    .language_version:
      - 2
      - 0
    .max_flat_workgroup_size: 128
    .name:           _Z24warp_reduce_valid_kernelI6__halfLj128ELj32EENSt9enable_ifIXsr10test_utilsE35device_test_enabled_for_warp_size_vIXT1_EEEvE4typeEPT_S5_i
    .private_segment_fixed_size: 0
    .sgpr_count:     18
    .sgpr_spill_count: 0
    .symbol:         _Z24warp_reduce_valid_kernelI6__halfLj128ELj32EENSt9enable_ifIXsr10test_utilsE35device_test_enabled_for_warp_size_vIXT1_EEEvE4typeEPT_S5_i.kd
    .uniform_work_group_size: 1
    .uses_dynamic_stack: false
    .vgpr_count:     13
    .vgpr_spill_count: 0
    .wavefront_size: 32
    .workgroup_processor_mode: 1
  - .args:
      - .address_space:  global
        .offset:         0
        .size:           8
        .value_kind:     global_buffer
      - .address_space:  global
        .offset:         8
        .size:           8
        .value_kind:     global_buffer
      - .offset:         16
        .size:           4
        .value_kind:     by_value
      - .offset:         24
        .size:           4
        .value_kind:     hidden_block_count_x
      - .offset:         28
        .size:           4
        .value_kind:     hidden_block_count_y
      - .offset:         32
        .size:           4
        .value_kind:     hidden_block_count_z
      - .offset:         36
        .size:           2
        .value_kind:     hidden_group_size_x
      - .offset:         38
        .size:           2
        .value_kind:     hidden_group_size_y
      - .offset:         40
        .size:           2
        .value_kind:     hidden_group_size_z
      - .offset:         42
        .size:           2
        .value_kind:     hidden_remainder_x
      - .offset:         44
        .size:           2
        .value_kind:     hidden_remainder_y
      - .offset:         46
        .size:           2
        .value_kind:     hidden_remainder_z
      - .offset:         64
        .size:           8
        .value_kind:     hidden_global_offset_x
      - .offset:         72
        .size:           8
        .value_kind:     hidden_global_offset_y
      - .offset:         80
        .size:           8
        .value_kind:     hidden_global_offset_z
      - .offset:         88
        .size:           2
        .value_kind:     hidden_grid_dims
    .group_segment_fixed_size: 0
    .kernarg_segment_align: 8
    .kernarg_segment_size: 280
    .language:       OpenCL C
    .language_version:
      - 2
      - 0
    .max_flat_workgroup_size: 64
    .name:           _Z24warp_reduce_valid_kernelI6__halfLj64ELj16EENSt9enable_ifIXsr10test_utilsE35device_test_enabled_for_warp_size_vIXT1_EEEvE4typeEPT_S5_i
    .private_segment_fixed_size: 0
    .sgpr_count:     18
    .sgpr_spill_count: 0
    .symbol:         _Z24warp_reduce_valid_kernelI6__halfLj64ELj16EENSt9enable_ifIXsr10test_utilsE35device_test_enabled_for_warp_size_vIXT1_EEEvE4typeEPT_S5_i.kd
    .uniform_work_group_size: 1
    .uses_dynamic_stack: false
    .vgpr_count:     13
    .vgpr_spill_count: 0
    .wavefront_size: 32
    .workgroup_processor_mode: 1
  - .args:
      - .address_space:  global
        .offset:         0
        .size:           8
        .value_kind:     global_buffer
      - .address_space:  global
        .offset:         8
        .size:           8
        .value_kind:     global_buffer
      - .offset:         16
        .size:           4
        .value_kind:     by_value
      - .offset:         24
        .size:           4
        .value_kind:     hidden_block_count_x
      - .offset:         28
        .size:           4
        .value_kind:     hidden_block_count_y
      - .offset:         32
        .size:           4
        .value_kind:     hidden_block_count_z
      - .offset:         36
        .size:           2
        .value_kind:     hidden_group_size_x
      - .offset:         38
        .size:           2
        .value_kind:     hidden_group_size_y
      - .offset:         40
        .size:           2
        .value_kind:     hidden_group_size_z
      - .offset:         42
        .size:           2
        .value_kind:     hidden_remainder_x
      - .offset:         44
        .size:           2
        .value_kind:     hidden_remainder_y
      - .offset:         46
        .size:           2
        .value_kind:     hidden_remainder_z
      - .offset:         64
        .size:           8
        .value_kind:     hidden_global_offset_x
      - .offset:         72
        .size:           8
        .value_kind:     hidden_global_offset_y
      - .offset:         80
        .size:           8
        .value_kind:     hidden_global_offset_z
      - .offset:         88
        .size:           2
        .value_kind:     hidden_grid_dims
    .group_segment_fixed_size: 0
    .kernarg_segment_align: 8
    .kernarg_segment_size: 280
    .language:       OpenCL C
    .language_version:
      - 2
      - 0
    .max_flat_workgroup_size: 32
    .name:           _Z24warp_reduce_valid_kernelI6__halfLj32ELj8EENSt9enable_ifIXsr10test_utilsE35device_test_enabled_for_warp_size_vIXT1_EEEvE4typeEPT_S5_i
    .private_segment_fixed_size: 0
    .sgpr_count:     18
    .sgpr_spill_count: 0
    .symbol:         _Z24warp_reduce_valid_kernelI6__halfLj32ELj8EENSt9enable_ifIXsr10test_utilsE35device_test_enabled_for_warp_size_vIXT1_EEEvE4typeEPT_S5_i.kd
    .uniform_work_group_size: 1
    .uses_dynamic_stack: false
    .vgpr_count:     11
    .vgpr_spill_count: 0
    .wavefront_size: 32
    .workgroup_processor_mode: 1
  - .args:
      - .address_space:  global
        .offset:         0
        .size:           8
        .value_kind:     global_buffer
      - .address_space:  global
        .offset:         8
        .size:           8
        .value_kind:     global_buffer
      - .offset:         16
        .size:           4
        .value_kind:     by_value
      - .offset:         24
        .size:           4
        .value_kind:     hidden_block_count_x
      - .offset:         28
        .size:           4
        .value_kind:     hidden_block_count_y
      - .offset:         32
        .size:           4
        .value_kind:     hidden_block_count_z
      - .offset:         36
        .size:           2
        .value_kind:     hidden_group_size_x
      - .offset:         38
        .size:           2
        .value_kind:     hidden_group_size_y
      - .offset:         40
        .size:           2
        .value_kind:     hidden_group_size_z
      - .offset:         42
        .size:           2
        .value_kind:     hidden_remainder_x
      - .offset:         44
        .size:           2
        .value_kind:     hidden_remainder_y
      - .offset:         46
        .size:           2
        .value_kind:     hidden_remainder_z
      - .offset:         64
        .size:           8
        .value_kind:     hidden_global_offset_x
      - .offset:         72
        .size:           8
        .value_kind:     hidden_global_offset_y
      - .offset:         80
        .size:           8
        .value_kind:     hidden_global_offset_z
      - .offset:         88
        .size:           2
        .value_kind:     hidden_grid_dims
    .group_segment_fixed_size: 0
    .kernarg_segment_align: 8
    .kernarg_segment_size: 280
    .language:       OpenCL C
    .language_version:
      - 2
      - 0
    .max_flat_workgroup_size: 64
    .name:           _Z24warp_reduce_valid_kernelI6__halfLj64ELj8EENSt9enable_ifIXsr10test_utilsE35device_test_enabled_for_warp_size_vIXT1_EEEvE4typeEPT_S5_i
    .private_segment_fixed_size: 0
    .sgpr_count:     18
    .sgpr_spill_count: 0
    .symbol:         _Z24warp_reduce_valid_kernelI6__halfLj64ELj8EENSt9enable_ifIXsr10test_utilsE35device_test_enabled_for_warp_size_vIXT1_EEEvE4typeEPT_S5_i.kd
    .uniform_work_group_size: 1
    .uses_dynamic_stack: false
    .vgpr_count:     11
    .vgpr_spill_count: 0
    .wavefront_size: 32
    .workgroup_processor_mode: 1
  - .args:
      - .address_space:  global
        .offset:         0
        .size:           8
        .value_kind:     global_buffer
      - .address_space:  global
        .offset:         8
        .size:           8
        .value_kind:     global_buffer
      - .offset:         16
        .size:           4
        .value_kind:     by_value
      - .offset:         24
        .size:           4
        .value_kind:     hidden_block_count_x
      - .offset:         28
        .size:           4
        .value_kind:     hidden_block_count_y
      - .offset:         32
        .size:           4
        .value_kind:     hidden_block_count_z
      - .offset:         36
        .size:           2
        .value_kind:     hidden_group_size_x
      - .offset:         38
        .size:           2
        .value_kind:     hidden_group_size_y
      - .offset:         40
        .size:           2
        .value_kind:     hidden_group_size_z
      - .offset:         42
        .size:           2
        .value_kind:     hidden_remainder_x
      - .offset:         44
        .size:           2
        .value_kind:     hidden_remainder_y
      - .offset:         46
        .size:           2
        .value_kind:     hidden_remainder_z
      - .offset:         64
        .size:           8
        .value_kind:     hidden_global_offset_x
      - .offset:         72
        .size:           8
        .value_kind:     hidden_global_offset_y
      - .offset:         80
        .size:           8
        .value_kind:     hidden_global_offset_z
      - .offset:         88
        .size:           2
        .value_kind:     hidden_grid_dims
    .group_segment_fixed_size: 0
    .kernarg_segment_align: 8
    .kernarg_segment_size: 280
    .language:       OpenCL C
    .language_version:
      - 2
      - 0
    .max_flat_workgroup_size: 32
    .name:           _Z24warp_reduce_valid_kernelI6__halfLj32ELj4EENSt9enable_ifIXsr10test_utilsE35device_test_enabled_for_warp_size_vIXT1_EEEvE4typeEPT_S5_i
    .private_segment_fixed_size: 0
    .sgpr_count:     18
    .sgpr_spill_count: 0
    .symbol:         _Z24warp_reduce_valid_kernelI6__halfLj32ELj4EENSt9enable_ifIXsr10test_utilsE35device_test_enabled_for_warp_size_vIXT1_EEEvE4typeEPT_S5_i.kd
    .uniform_work_group_size: 1
    .uses_dynamic_stack: false
    .vgpr_count:     10
    .vgpr_spill_count: 0
    .wavefront_size: 32
    .workgroup_processor_mode: 1
  - .args:
      - .address_space:  global
        .offset:         0
        .size:           8
        .value_kind:     global_buffer
      - .address_space:  global
        .offset:         8
        .size:           8
        .value_kind:     global_buffer
      - .offset:         16
        .size:           4
        .value_kind:     by_value
      - .offset:         24
        .size:           4
        .value_kind:     hidden_block_count_x
      - .offset:         28
        .size:           4
        .value_kind:     hidden_block_count_y
      - .offset:         32
        .size:           4
        .value_kind:     hidden_block_count_z
      - .offset:         36
        .size:           2
        .value_kind:     hidden_group_size_x
      - .offset:         38
        .size:           2
        .value_kind:     hidden_group_size_y
      - .offset:         40
        .size:           2
        .value_kind:     hidden_group_size_z
      - .offset:         42
        .size:           2
        .value_kind:     hidden_remainder_x
      - .offset:         44
        .size:           2
        .value_kind:     hidden_remainder_y
      - .offset:         46
        .size:           2
        .value_kind:     hidden_remainder_z
      - .offset:         64
        .size:           8
        .value_kind:     hidden_global_offset_x
      - .offset:         72
        .size:           8
        .value_kind:     hidden_global_offset_y
      - .offset:         80
        .size:           8
        .value_kind:     hidden_global_offset_z
      - .offset:         88
        .size:           2
        .value_kind:     hidden_grid_dims
    .group_segment_fixed_size: 0
    .kernarg_segment_align: 8
    .kernarg_segment_size: 280
    .language:       OpenCL C
    .language_version:
      - 2
      - 0
    .max_flat_workgroup_size: 64
    .name:           _Z24warp_reduce_valid_kernelI6__halfLj64ELj4EENSt9enable_ifIXsr10test_utilsE35device_test_enabled_for_warp_size_vIXT1_EEEvE4typeEPT_S5_i
    .private_segment_fixed_size: 0
    .sgpr_count:     18
    .sgpr_spill_count: 0
    .symbol:         _Z24warp_reduce_valid_kernelI6__halfLj64ELj4EENSt9enable_ifIXsr10test_utilsE35device_test_enabled_for_warp_size_vIXT1_EEEvE4typeEPT_S5_i.kd
    .uniform_work_group_size: 1
    .uses_dynamic_stack: false
    .vgpr_count:     10
    .vgpr_spill_count: 0
    .wavefront_size: 32
    .workgroup_processor_mode: 1
  - .args:
      - .address_space:  global
        .offset:         0
        .size:           8
        .value_kind:     global_buffer
      - .address_space:  global
        .offset:         8
        .size:           8
        .value_kind:     global_buffer
      - .offset:         16
        .size:           4
        .value_kind:     by_value
      - .offset:         24
        .size:           4
        .value_kind:     hidden_block_count_x
      - .offset:         28
        .size:           4
        .value_kind:     hidden_block_count_y
      - .offset:         32
        .size:           4
        .value_kind:     hidden_block_count_z
      - .offset:         36
        .size:           2
        .value_kind:     hidden_group_size_x
      - .offset:         38
        .size:           2
        .value_kind:     hidden_group_size_y
      - .offset:         40
        .size:           2
        .value_kind:     hidden_group_size_z
      - .offset:         42
        .size:           2
        .value_kind:     hidden_remainder_x
      - .offset:         44
        .size:           2
        .value_kind:     hidden_remainder_y
      - .offset:         46
        .size:           2
        .value_kind:     hidden_remainder_z
      - .offset:         64
        .size:           8
        .value_kind:     hidden_global_offset_x
      - .offset:         72
        .size:           8
        .value_kind:     hidden_global_offset_y
      - .offset:         80
        .size:           8
        .value_kind:     hidden_global_offset_z
      - .offset:         88
        .size:           2
        .value_kind:     hidden_grid_dims
    .group_segment_fixed_size: 0
    .kernarg_segment_align: 8
    .kernarg_segment_size: 280
    .language:       OpenCL C
    .language_version:
      - 2
      - 0
    .max_flat_workgroup_size: 32
    .name:           _Z24warp_reduce_valid_kernelI6__halfLj32ELj2EENSt9enable_ifIXsr10test_utilsE35device_test_enabled_for_warp_size_vIXT1_EEEvE4typeEPT_S5_i
    .private_segment_fixed_size: 0
    .sgpr_count:     18
    .sgpr_spill_count: 0
    .symbol:         _Z24warp_reduce_valid_kernelI6__halfLj32ELj2EENSt9enable_ifIXsr10test_utilsE35device_test_enabled_for_warp_size_vIXT1_EEEvE4typeEPT_S5_i.kd
    .uniform_work_group_size: 1
    .uses_dynamic_stack: false
    .vgpr_count:     6
    .vgpr_spill_count: 0
    .wavefront_size: 32
    .workgroup_processor_mode: 1
  - .args:
      - .address_space:  global
        .offset:         0
        .size:           8
        .value_kind:     global_buffer
      - .address_space:  global
        .offset:         8
        .size:           8
        .value_kind:     global_buffer
      - .offset:         16
        .size:           4
        .value_kind:     by_value
      - .offset:         24
        .size:           4
        .value_kind:     hidden_block_count_x
      - .offset:         28
        .size:           4
        .value_kind:     hidden_block_count_y
      - .offset:         32
        .size:           4
        .value_kind:     hidden_block_count_z
      - .offset:         36
        .size:           2
        .value_kind:     hidden_group_size_x
      - .offset:         38
        .size:           2
        .value_kind:     hidden_group_size_y
      - .offset:         40
        .size:           2
        .value_kind:     hidden_group_size_z
      - .offset:         42
        .size:           2
        .value_kind:     hidden_remainder_x
      - .offset:         44
        .size:           2
        .value_kind:     hidden_remainder_y
      - .offset:         46
        .size:           2
        .value_kind:     hidden_remainder_z
      - .offset:         64
        .size:           8
        .value_kind:     hidden_global_offset_x
      - .offset:         72
        .size:           8
        .value_kind:     hidden_global_offset_y
      - .offset:         80
        .size:           8
        .value_kind:     hidden_global_offset_z
      - .offset:         88
        .size:           2
        .value_kind:     hidden_grid_dims
    .group_segment_fixed_size: 0
    .kernarg_segment_align: 8
    .kernarg_segment_size: 280
    .language:       OpenCL C
    .language_version:
      - 2
      - 0
    .max_flat_workgroup_size: 64
    .name:           _Z24warp_reduce_valid_kernelI6__halfLj64ELj2EENSt9enable_ifIXsr10test_utilsE35device_test_enabled_for_warp_size_vIXT1_EEEvE4typeEPT_S5_i
    .private_segment_fixed_size: 0
    .sgpr_count:     18
    .sgpr_spill_count: 0
    .symbol:         _Z24warp_reduce_valid_kernelI6__halfLj64ELj2EENSt9enable_ifIXsr10test_utilsE35device_test_enabled_for_warp_size_vIXT1_EEEvE4typeEPT_S5_i.kd
    .uniform_work_group_size: 1
    .uses_dynamic_stack: false
    .vgpr_count:     6
    .vgpr_spill_count: 0
    .wavefront_size: 32
    .workgroup_processor_mode: 1
  - .args:
      - .address_space:  global
        .offset:         0
        .size:           8
        .value_kind:     global_buffer
      - .address_space:  global
        .offset:         8
        .size:           8
        .value_kind:     global_buffer
      - .offset:         16
        .size:           4
        .value_kind:     by_value
      - .offset:         24
        .size:           4
        .value_kind:     hidden_block_count_x
      - .offset:         28
        .size:           4
        .value_kind:     hidden_block_count_y
      - .offset:         32
        .size:           4
        .value_kind:     hidden_block_count_z
      - .offset:         36
        .size:           2
        .value_kind:     hidden_group_size_x
      - .offset:         38
        .size:           2
        .value_kind:     hidden_group_size_y
      - .offset:         40
        .size:           2
        .value_kind:     hidden_group_size_z
      - .offset:         42
        .size:           2
        .value_kind:     hidden_remainder_x
      - .offset:         44
        .size:           2
        .value_kind:     hidden_remainder_y
      - .offset:         46
        .size:           2
        .value_kind:     hidden_remainder_z
      - .offset:         64
        .size:           8
        .value_kind:     hidden_global_offset_x
      - .offset:         72
        .size:           8
        .value_kind:     hidden_global_offset_y
      - .offset:         80
        .size:           8
        .value_kind:     hidden_global_offset_z
      - .offset:         88
        .size:           2
        .value_kind:     hidden_grid_dims
    .group_segment_fixed_size: 0
    .kernarg_segment_align: 8
    .kernarg_segment_size: 280
    .language:       OpenCL C
    .language_version:
      - 2
      - 0
    .max_flat_workgroup_size: 32
    .name:           _Z24warp_reduce_valid_kernelI6__halfLj32ELj1EENSt9enable_ifIXsr10test_utilsE35device_test_enabled_for_warp_size_vIXT1_EEEvE4typeEPT_S5_i
    .private_segment_fixed_size: 0
    .sgpr_count:     18
    .sgpr_spill_count: 0
    .symbol:         _Z24warp_reduce_valid_kernelI6__halfLj32ELj1EENSt9enable_ifIXsr10test_utilsE35device_test_enabled_for_warp_size_vIXT1_EEEvE4typeEPT_S5_i.kd
    .uniform_work_group_size: 1
    .uses_dynamic_stack: false
    .vgpr_count:     4
    .vgpr_spill_count: 0
    .wavefront_size: 32
    .workgroup_processor_mode: 1
  - .args:
      - .address_space:  global
        .offset:         0
        .size:           8
        .value_kind:     global_buffer
      - .address_space:  global
        .offset:         8
        .size:           8
        .value_kind:     global_buffer
      - .offset:         16
        .size:           4
        .value_kind:     by_value
      - .offset:         24
        .size:           4
        .value_kind:     hidden_block_count_x
      - .offset:         28
        .size:           4
        .value_kind:     hidden_block_count_y
      - .offset:         32
        .size:           4
        .value_kind:     hidden_block_count_z
      - .offset:         36
        .size:           2
        .value_kind:     hidden_group_size_x
      - .offset:         38
        .size:           2
        .value_kind:     hidden_group_size_y
      - .offset:         40
        .size:           2
        .value_kind:     hidden_group_size_z
      - .offset:         42
        .size:           2
        .value_kind:     hidden_remainder_x
      - .offset:         44
        .size:           2
        .value_kind:     hidden_remainder_y
      - .offset:         46
        .size:           2
        .value_kind:     hidden_remainder_z
      - .offset:         64
        .size:           8
        .value_kind:     hidden_global_offset_x
      - .offset:         72
        .size:           8
        .value_kind:     hidden_global_offset_y
      - .offset:         80
        .size:           8
        .value_kind:     hidden_global_offset_z
      - .offset:         88
        .size:           2
        .value_kind:     hidden_grid_dims
    .group_segment_fixed_size: 0
    .kernarg_segment_align: 8
    .kernarg_segment_size: 280
    .language:       OpenCL C
    .language_version:
      - 2
      - 0
    .max_flat_workgroup_size: 64
    .name:           _Z24warp_reduce_valid_kernelI6__halfLj64ELj1EENSt9enable_ifIXsr10test_utilsE35device_test_enabled_for_warp_size_vIXT1_EEEvE4typeEPT_S5_i
    .private_segment_fixed_size: 0
    .sgpr_count:     18
    .sgpr_spill_count: 0
    .symbol:         _Z24warp_reduce_valid_kernelI6__halfLj64ELj1EENSt9enable_ifIXsr10test_utilsE35device_test_enabled_for_warp_size_vIXT1_EEEvE4typeEPT_S5_i.kd
    .uniform_work_group_size: 1
    .uses_dynamic_stack: false
    .vgpr_count:     4
    .vgpr_spill_count: 0
    .wavefront_size: 32
    .workgroup_processor_mode: 1
  - .args:
      - .address_space:  global
        .offset:         0
        .size:           8
        .value_kind:     global_buffer
      - .address_space:  global
        .offset:         8
        .size:           8
        .value_kind:     global_buffer
      - .offset:         16
        .size:           4
        .value_kind:     by_value
    .group_segment_fixed_size: 0
    .kernarg_segment_align: 8
    .kernarg_segment_size: 20
    .language:       OpenCL C
    .language_version:
      - 2
      - 0
    .max_flat_workgroup_size: 256
    .name:           _Z24warp_reduce_valid_kernelIfLj256ELj64EENSt9enable_ifIXntsr10test_utilsE35device_test_enabled_for_warp_size_vIXT1_EEEvE4typeEPT_S4_i
    .private_segment_fixed_size: 0
    .sgpr_count:     0
    .sgpr_spill_count: 0
    .symbol:         _Z24warp_reduce_valid_kernelIfLj256ELj64EENSt9enable_ifIXntsr10test_utilsE35device_test_enabled_for_warp_size_vIXT1_EEEvE4typeEPT_S4_i.kd
    .uniform_work_group_size: 1
    .uses_dynamic_stack: false
    .vgpr_count:     0
    .vgpr_spill_count: 0
    .wavefront_size: 32
    .workgroup_processor_mode: 1
  - .args:
      - .address_space:  global
        .offset:         0
        .size:           8
        .value_kind:     global_buffer
      - .address_space:  global
        .offset:         8
        .size:           8
        .value_kind:     global_buffer
      - .offset:         16
        .size:           4
        .value_kind:     by_value
      - .offset:         24
        .size:           4
        .value_kind:     hidden_block_count_x
      - .offset:         28
        .size:           4
        .value_kind:     hidden_block_count_y
      - .offset:         32
        .size:           4
        .value_kind:     hidden_block_count_z
      - .offset:         36
        .size:           2
        .value_kind:     hidden_group_size_x
      - .offset:         38
        .size:           2
        .value_kind:     hidden_group_size_y
      - .offset:         40
        .size:           2
        .value_kind:     hidden_group_size_z
      - .offset:         42
        .size:           2
        .value_kind:     hidden_remainder_x
      - .offset:         44
        .size:           2
        .value_kind:     hidden_remainder_y
      - .offset:         46
        .size:           2
        .value_kind:     hidden_remainder_z
      - .offset:         64
        .size:           8
        .value_kind:     hidden_global_offset_x
      - .offset:         72
        .size:           8
        .value_kind:     hidden_global_offset_y
      - .offset:         80
        .size:           8
        .value_kind:     hidden_global_offset_z
      - .offset:         88
        .size:           2
        .value_kind:     hidden_grid_dims
    .group_segment_fixed_size: 0
    .kernarg_segment_align: 8
    .kernarg_segment_size: 280
    .language:       OpenCL C
    .language_version:
      - 2
      - 0
    .max_flat_workgroup_size: 128
    .name:           _Z24warp_reduce_valid_kernelIfLj128ELj32EENSt9enable_ifIXsr10test_utilsE35device_test_enabled_for_warp_size_vIXT1_EEEvE4typeEPT_S4_i
    .private_segment_fixed_size: 0
    .sgpr_count:     18
    .sgpr_spill_count: 0
    .symbol:         _Z24warp_reduce_valid_kernelIfLj128ELj32EENSt9enable_ifIXsr10test_utilsE35device_test_enabled_for_warp_size_vIXT1_EEEvE4typeEPT_S4_i.kd
    .uniform_work_group_size: 1
    .uses_dynamic_stack: false
    .vgpr_count:     7
    .vgpr_spill_count: 0
    .wavefront_size: 32
    .workgroup_processor_mode: 1
  - .args:
      - .address_space:  global
        .offset:         0
        .size:           8
        .value_kind:     global_buffer
      - .address_space:  global
        .offset:         8
        .size:           8
        .value_kind:     global_buffer
      - .offset:         16
        .size:           4
        .value_kind:     by_value
      - .offset:         24
        .size:           4
        .value_kind:     hidden_block_count_x
      - .offset:         28
        .size:           4
        .value_kind:     hidden_block_count_y
      - .offset:         32
        .size:           4
        .value_kind:     hidden_block_count_z
      - .offset:         36
        .size:           2
        .value_kind:     hidden_group_size_x
      - .offset:         38
        .size:           2
        .value_kind:     hidden_group_size_y
      - .offset:         40
        .size:           2
        .value_kind:     hidden_group_size_z
      - .offset:         42
        .size:           2
        .value_kind:     hidden_remainder_x
      - .offset:         44
        .size:           2
        .value_kind:     hidden_remainder_y
      - .offset:         46
        .size:           2
        .value_kind:     hidden_remainder_z
      - .offset:         64
        .size:           8
        .value_kind:     hidden_global_offset_x
      - .offset:         72
        .size:           8
        .value_kind:     hidden_global_offset_y
      - .offset:         80
        .size:           8
        .value_kind:     hidden_global_offset_z
      - .offset:         88
        .size:           2
        .value_kind:     hidden_grid_dims
    .group_segment_fixed_size: 0
    .kernarg_segment_align: 8
    .kernarg_segment_size: 280
    .language:       OpenCL C
    .language_version:
      - 2
      - 0
    .max_flat_workgroup_size: 64
    .name:           _Z24warp_reduce_valid_kernelIfLj64ELj16EENSt9enable_ifIXsr10test_utilsE35device_test_enabled_for_warp_size_vIXT1_EEEvE4typeEPT_S4_i
    .private_segment_fixed_size: 0
    .sgpr_count:     18
    .sgpr_spill_count: 0
    .symbol:         _Z24warp_reduce_valid_kernelIfLj64ELj16EENSt9enable_ifIXsr10test_utilsE35device_test_enabled_for_warp_size_vIXT1_EEEvE4typeEPT_S4_i.kd
    .uniform_work_group_size: 1
    .uses_dynamic_stack: false
    .vgpr_count:     9
    .vgpr_spill_count: 0
    .wavefront_size: 32
    .workgroup_processor_mode: 1
  - .args:
      - .address_space:  global
        .offset:         0
        .size:           8
        .value_kind:     global_buffer
      - .address_space:  global
        .offset:         8
        .size:           8
        .value_kind:     global_buffer
      - .offset:         16
        .size:           4
        .value_kind:     by_value
      - .offset:         24
        .size:           4
        .value_kind:     hidden_block_count_x
      - .offset:         28
        .size:           4
        .value_kind:     hidden_block_count_y
      - .offset:         32
        .size:           4
        .value_kind:     hidden_block_count_z
      - .offset:         36
        .size:           2
        .value_kind:     hidden_group_size_x
      - .offset:         38
        .size:           2
        .value_kind:     hidden_group_size_y
      - .offset:         40
        .size:           2
        .value_kind:     hidden_group_size_z
      - .offset:         42
        .size:           2
        .value_kind:     hidden_remainder_x
      - .offset:         44
        .size:           2
        .value_kind:     hidden_remainder_y
      - .offset:         46
        .size:           2
        .value_kind:     hidden_remainder_z
      - .offset:         64
        .size:           8
        .value_kind:     hidden_global_offset_x
      - .offset:         72
        .size:           8
        .value_kind:     hidden_global_offset_y
      - .offset:         80
        .size:           8
        .value_kind:     hidden_global_offset_z
      - .offset:         88
        .size:           2
        .value_kind:     hidden_grid_dims
    .group_segment_fixed_size: 0
    .kernarg_segment_align: 8
    .kernarg_segment_size: 280
    .language:       OpenCL C
    .language_version:
      - 2
      - 0
    .max_flat_workgroup_size: 32
    .name:           _Z24warp_reduce_valid_kernelIfLj32ELj8EENSt9enable_ifIXsr10test_utilsE35device_test_enabled_for_warp_size_vIXT1_EEEvE4typeEPT_S4_i
    .private_segment_fixed_size: 0
    .sgpr_count:     18
    .sgpr_spill_count: 0
    .symbol:         _Z24warp_reduce_valid_kernelIfLj32ELj8EENSt9enable_ifIXsr10test_utilsE35device_test_enabled_for_warp_size_vIXT1_EEEvE4typeEPT_S4_i.kd
    .uniform_work_group_size: 1
    .uses_dynamic_stack: false
    .vgpr_count:     9
    .vgpr_spill_count: 0
    .wavefront_size: 32
    .workgroup_processor_mode: 1
  - .args:
      - .address_space:  global
        .offset:         0
        .size:           8
        .value_kind:     global_buffer
      - .address_space:  global
        .offset:         8
        .size:           8
        .value_kind:     global_buffer
      - .offset:         16
        .size:           4
        .value_kind:     by_value
      - .offset:         24
        .size:           4
        .value_kind:     hidden_block_count_x
      - .offset:         28
        .size:           4
        .value_kind:     hidden_block_count_y
      - .offset:         32
        .size:           4
        .value_kind:     hidden_block_count_z
      - .offset:         36
        .size:           2
        .value_kind:     hidden_group_size_x
      - .offset:         38
        .size:           2
        .value_kind:     hidden_group_size_y
      - .offset:         40
        .size:           2
        .value_kind:     hidden_group_size_z
      - .offset:         42
        .size:           2
        .value_kind:     hidden_remainder_x
      - .offset:         44
        .size:           2
        .value_kind:     hidden_remainder_y
      - .offset:         46
        .size:           2
        .value_kind:     hidden_remainder_z
      - .offset:         64
        .size:           8
        .value_kind:     hidden_global_offset_x
      - .offset:         72
        .size:           8
        .value_kind:     hidden_global_offset_y
      - .offset:         80
        .size:           8
        .value_kind:     hidden_global_offset_z
      - .offset:         88
        .size:           2
        .value_kind:     hidden_grid_dims
    .group_segment_fixed_size: 0
    .kernarg_segment_align: 8
    .kernarg_segment_size: 280
    .language:       OpenCL C
    .language_version:
      - 2
      - 0
    .max_flat_workgroup_size: 64
    .name:           _Z24warp_reduce_valid_kernelIfLj64ELj8EENSt9enable_ifIXsr10test_utilsE35device_test_enabled_for_warp_size_vIXT1_EEEvE4typeEPT_S4_i
    .private_segment_fixed_size: 0
    .sgpr_count:     18
    .sgpr_spill_count: 0
    .symbol:         _Z24warp_reduce_valid_kernelIfLj64ELj8EENSt9enable_ifIXsr10test_utilsE35device_test_enabled_for_warp_size_vIXT1_EEEvE4typeEPT_S4_i.kd
    .uniform_work_group_size: 1
    .uses_dynamic_stack: false
    .vgpr_count:     9
    .vgpr_spill_count: 0
    .wavefront_size: 32
    .workgroup_processor_mode: 1
  - .args:
      - .address_space:  global
        .offset:         0
        .size:           8
        .value_kind:     global_buffer
      - .address_space:  global
        .offset:         8
        .size:           8
        .value_kind:     global_buffer
      - .offset:         16
        .size:           4
        .value_kind:     by_value
      - .offset:         24
        .size:           4
        .value_kind:     hidden_block_count_x
      - .offset:         28
        .size:           4
        .value_kind:     hidden_block_count_y
      - .offset:         32
        .size:           4
        .value_kind:     hidden_block_count_z
      - .offset:         36
        .size:           2
        .value_kind:     hidden_group_size_x
      - .offset:         38
        .size:           2
        .value_kind:     hidden_group_size_y
      - .offset:         40
        .size:           2
        .value_kind:     hidden_group_size_z
      - .offset:         42
        .size:           2
        .value_kind:     hidden_remainder_x
      - .offset:         44
        .size:           2
        .value_kind:     hidden_remainder_y
      - .offset:         46
        .size:           2
        .value_kind:     hidden_remainder_z
      - .offset:         64
        .size:           8
        .value_kind:     hidden_global_offset_x
      - .offset:         72
        .size:           8
        .value_kind:     hidden_global_offset_y
      - .offset:         80
        .size:           8
        .value_kind:     hidden_global_offset_z
      - .offset:         88
        .size:           2
        .value_kind:     hidden_grid_dims
    .group_segment_fixed_size: 0
    .kernarg_segment_align: 8
    .kernarg_segment_size: 280
    .language:       OpenCL C
    .language_version:
      - 2
      - 0
    .max_flat_workgroup_size: 32
    .name:           _Z24warp_reduce_valid_kernelIfLj32ELj4EENSt9enable_ifIXsr10test_utilsE35device_test_enabled_for_warp_size_vIXT1_EEEvE4typeEPT_S4_i
    .private_segment_fixed_size: 0
    .sgpr_count:     18
    .sgpr_spill_count: 0
    .symbol:         _Z24warp_reduce_valid_kernelIfLj32ELj4EENSt9enable_ifIXsr10test_utilsE35device_test_enabled_for_warp_size_vIXT1_EEEvE4typeEPT_S4_i.kd
    .uniform_work_group_size: 1
    .uses_dynamic_stack: false
    .vgpr_count:     8
    .vgpr_spill_count: 0
    .wavefront_size: 32
    .workgroup_processor_mode: 1
  - .args:
      - .address_space:  global
        .offset:         0
        .size:           8
        .value_kind:     global_buffer
      - .address_space:  global
        .offset:         8
        .size:           8
        .value_kind:     global_buffer
      - .offset:         16
        .size:           4
        .value_kind:     by_value
      - .offset:         24
        .size:           4
        .value_kind:     hidden_block_count_x
      - .offset:         28
        .size:           4
        .value_kind:     hidden_block_count_y
      - .offset:         32
        .size:           4
        .value_kind:     hidden_block_count_z
      - .offset:         36
        .size:           2
        .value_kind:     hidden_group_size_x
      - .offset:         38
        .size:           2
        .value_kind:     hidden_group_size_y
      - .offset:         40
        .size:           2
        .value_kind:     hidden_group_size_z
      - .offset:         42
        .size:           2
        .value_kind:     hidden_remainder_x
      - .offset:         44
        .size:           2
        .value_kind:     hidden_remainder_y
      - .offset:         46
        .size:           2
        .value_kind:     hidden_remainder_z
      - .offset:         64
        .size:           8
        .value_kind:     hidden_global_offset_x
      - .offset:         72
        .size:           8
        .value_kind:     hidden_global_offset_y
      - .offset:         80
        .size:           8
        .value_kind:     hidden_global_offset_z
      - .offset:         88
        .size:           2
        .value_kind:     hidden_grid_dims
    .group_segment_fixed_size: 0
    .kernarg_segment_align: 8
    .kernarg_segment_size: 280
    .language:       OpenCL C
    .language_version:
      - 2
      - 0
    .max_flat_workgroup_size: 64
    .name:           _Z24warp_reduce_valid_kernelIfLj64ELj4EENSt9enable_ifIXsr10test_utilsE35device_test_enabled_for_warp_size_vIXT1_EEEvE4typeEPT_S4_i
    .private_segment_fixed_size: 0
    .sgpr_count:     18
    .sgpr_spill_count: 0
    .symbol:         _Z24warp_reduce_valid_kernelIfLj64ELj4EENSt9enable_ifIXsr10test_utilsE35device_test_enabled_for_warp_size_vIXT1_EEEvE4typeEPT_S4_i.kd
    .uniform_work_group_size: 1
    .uses_dynamic_stack: false
    .vgpr_count:     8
    .vgpr_spill_count: 0
    .wavefront_size: 32
    .workgroup_processor_mode: 1
  - .args:
      - .address_space:  global
        .offset:         0
        .size:           8
        .value_kind:     global_buffer
      - .address_space:  global
        .offset:         8
        .size:           8
        .value_kind:     global_buffer
      - .offset:         16
        .size:           4
        .value_kind:     by_value
      - .offset:         24
        .size:           4
        .value_kind:     hidden_block_count_x
      - .offset:         28
        .size:           4
        .value_kind:     hidden_block_count_y
      - .offset:         32
        .size:           4
        .value_kind:     hidden_block_count_z
      - .offset:         36
        .size:           2
        .value_kind:     hidden_group_size_x
      - .offset:         38
        .size:           2
        .value_kind:     hidden_group_size_y
      - .offset:         40
        .size:           2
        .value_kind:     hidden_group_size_z
      - .offset:         42
        .size:           2
        .value_kind:     hidden_remainder_x
      - .offset:         44
        .size:           2
        .value_kind:     hidden_remainder_y
      - .offset:         46
        .size:           2
        .value_kind:     hidden_remainder_z
      - .offset:         64
        .size:           8
        .value_kind:     hidden_global_offset_x
      - .offset:         72
        .size:           8
        .value_kind:     hidden_global_offset_y
      - .offset:         80
        .size:           8
        .value_kind:     hidden_global_offset_z
      - .offset:         88
        .size:           2
        .value_kind:     hidden_grid_dims
    .group_segment_fixed_size: 0
    .kernarg_segment_align: 8
    .kernarg_segment_size: 280
    .language:       OpenCL C
    .language_version:
      - 2
      - 0
    .max_flat_workgroup_size: 32
    .name:           _Z24warp_reduce_valid_kernelIfLj32ELj2EENSt9enable_ifIXsr10test_utilsE35device_test_enabled_for_warp_size_vIXT1_EEEvE4typeEPT_S4_i
    .private_segment_fixed_size: 0
    .sgpr_count:     18
    .sgpr_spill_count: 0
    .symbol:         _Z24warp_reduce_valid_kernelIfLj32ELj2EENSt9enable_ifIXsr10test_utilsE35device_test_enabled_for_warp_size_vIXT1_EEEvE4typeEPT_S4_i.kd
    .uniform_work_group_size: 1
    .uses_dynamic_stack: false
    .vgpr_count:     6
    .vgpr_spill_count: 0
    .wavefront_size: 32
    .workgroup_processor_mode: 1
  - .args:
      - .address_space:  global
        .offset:         0
        .size:           8
        .value_kind:     global_buffer
      - .address_space:  global
        .offset:         8
        .size:           8
        .value_kind:     global_buffer
      - .offset:         16
        .size:           4
        .value_kind:     by_value
      - .offset:         24
        .size:           4
        .value_kind:     hidden_block_count_x
      - .offset:         28
        .size:           4
        .value_kind:     hidden_block_count_y
      - .offset:         32
        .size:           4
        .value_kind:     hidden_block_count_z
      - .offset:         36
        .size:           2
        .value_kind:     hidden_group_size_x
      - .offset:         38
        .size:           2
        .value_kind:     hidden_group_size_y
      - .offset:         40
        .size:           2
        .value_kind:     hidden_group_size_z
      - .offset:         42
        .size:           2
        .value_kind:     hidden_remainder_x
      - .offset:         44
        .size:           2
        .value_kind:     hidden_remainder_y
      - .offset:         46
        .size:           2
        .value_kind:     hidden_remainder_z
      - .offset:         64
        .size:           8
        .value_kind:     hidden_global_offset_x
      - .offset:         72
        .size:           8
        .value_kind:     hidden_global_offset_y
      - .offset:         80
        .size:           8
        .value_kind:     hidden_global_offset_z
      - .offset:         88
        .size:           2
        .value_kind:     hidden_grid_dims
    .group_segment_fixed_size: 0
    .kernarg_segment_align: 8
    .kernarg_segment_size: 280
    .language:       OpenCL C
    .language_version:
      - 2
      - 0
    .max_flat_workgroup_size: 64
    .name:           _Z24warp_reduce_valid_kernelIfLj64ELj2EENSt9enable_ifIXsr10test_utilsE35device_test_enabled_for_warp_size_vIXT1_EEEvE4typeEPT_S4_i
    .private_segment_fixed_size: 0
    .sgpr_count:     18
    .sgpr_spill_count: 0
    .symbol:         _Z24warp_reduce_valid_kernelIfLj64ELj2EENSt9enable_ifIXsr10test_utilsE35device_test_enabled_for_warp_size_vIXT1_EEEvE4typeEPT_S4_i.kd
    .uniform_work_group_size: 1
    .uses_dynamic_stack: false
    .vgpr_count:     6
    .vgpr_spill_count: 0
    .wavefront_size: 32
    .workgroup_processor_mode: 1
  - .args:
      - .address_space:  global
        .offset:         0
        .size:           8
        .value_kind:     global_buffer
      - .address_space:  global
        .offset:         8
        .size:           8
        .value_kind:     global_buffer
      - .offset:         16
        .size:           4
        .value_kind:     by_value
      - .offset:         24
        .size:           4
        .value_kind:     hidden_block_count_x
      - .offset:         28
        .size:           4
        .value_kind:     hidden_block_count_y
      - .offset:         32
        .size:           4
        .value_kind:     hidden_block_count_z
      - .offset:         36
        .size:           2
        .value_kind:     hidden_group_size_x
      - .offset:         38
        .size:           2
        .value_kind:     hidden_group_size_y
      - .offset:         40
        .size:           2
        .value_kind:     hidden_group_size_z
      - .offset:         42
        .size:           2
        .value_kind:     hidden_remainder_x
      - .offset:         44
        .size:           2
        .value_kind:     hidden_remainder_y
      - .offset:         46
        .size:           2
        .value_kind:     hidden_remainder_z
      - .offset:         64
        .size:           8
        .value_kind:     hidden_global_offset_x
      - .offset:         72
        .size:           8
        .value_kind:     hidden_global_offset_y
      - .offset:         80
        .size:           8
        .value_kind:     hidden_global_offset_z
      - .offset:         88
        .size:           2
        .value_kind:     hidden_grid_dims
    .group_segment_fixed_size: 0
    .kernarg_segment_align: 8
    .kernarg_segment_size: 280
    .language:       OpenCL C
    .language_version:
      - 2
      - 0
    .max_flat_workgroup_size: 32
    .name:           _Z24warp_reduce_valid_kernelIfLj32ELj1EENSt9enable_ifIXsr10test_utilsE35device_test_enabled_for_warp_size_vIXT1_EEEvE4typeEPT_S4_i
    .private_segment_fixed_size: 0
    .sgpr_count:     18
    .sgpr_spill_count: 0
    .symbol:         _Z24warp_reduce_valid_kernelIfLj32ELj1EENSt9enable_ifIXsr10test_utilsE35device_test_enabled_for_warp_size_vIXT1_EEEvE4typeEPT_S4_i.kd
    .uniform_work_group_size: 1
    .uses_dynamic_stack: false
    .vgpr_count:     4
    .vgpr_spill_count: 0
    .wavefront_size: 32
    .workgroup_processor_mode: 1
  - .args:
      - .address_space:  global
        .offset:         0
        .size:           8
        .value_kind:     global_buffer
      - .address_space:  global
        .offset:         8
        .size:           8
        .value_kind:     global_buffer
      - .offset:         16
        .size:           4
        .value_kind:     by_value
      - .offset:         24
        .size:           4
        .value_kind:     hidden_block_count_x
      - .offset:         28
        .size:           4
        .value_kind:     hidden_block_count_y
      - .offset:         32
        .size:           4
        .value_kind:     hidden_block_count_z
      - .offset:         36
        .size:           2
        .value_kind:     hidden_group_size_x
      - .offset:         38
        .size:           2
        .value_kind:     hidden_group_size_y
      - .offset:         40
        .size:           2
        .value_kind:     hidden_group_size_z
      - .offset:         42
        .size:           2
        .value_kind:     hidden_remainder_x
      - .offset:         44
        .size:           2
        .value_kind:     hidden_remainder_y
      - .offset:         46
        .size:           2
        .value_kind:     hidden_remainder_z
      - .offset:         64
        .size:           8
        .value_kind:     hidden_global_offset_x
      - .offset:         72
        .size:           8
        .value_kind:     hidden_global_offset_y
      - .offset:         80
        .size:           8
        .value_kind:     hidden_global_offset_z
      - .offset:         88
        .size:           2
        .value_kind:     hidden_grid_dims
    .group_segment_fixed_size: 0
    .kernarg_segment_align: 8
    .kernarg_segment_size: 280
    .language:       OpenCL C
    .language_version:
      - 2
      - 0
    .max_flat_workgroup_size: 64
    .name:           _Z24warp_reduce_valid_kernelIfLj64ELj1EENSt9enable_ifIXsr10test_utilsE35device_test_enabled_for_warp_size_vIXT1_EEEvE4typeEPT_S4_i
    .private_segment_fixed_size: 0
    .sgpr_count:     18
    .sgpr_spill_count: 0
    .symbol:         _Z24warp_reduce_valid_kernelIfLj64ELj1EENSt9enable_ifIXsr10test_utilsE35device_test_enabled_for_warp_size_vIXT1_EEEvE4typeEPT_S4_i.kd
    .uniform_work_group_size: 1
    .uses_dynamic_stack: false
    .vgpr_count:     4
    .vgpr_spill_count: 0
    .wavefront_size: 32
    .workgroup_processor_mode: 1
  - .args:
      - .address_space:  global
        .offset:         0
        .size:           8
        .value_kind:     global_buffer
      - .address_space:  global
        .offset:         8
        .size:           8
        .value_kind:     global_buffer
      - .offset:         16
        .size:           4
        .value_kind:     by_value
    .group_segment_fixed_size: 0
    .kernarg_segment_align: 8
    .kernarg_segment_size: 20
    .language:       OpenCL C
    .language_version:
      - 2
      - 0
    .max_flat_workgroup_size: 256
    .name:           _Z24warp_reduce_valid_kernelIiLj256ELj64EENSt9enable_ifIXntsr10test_utilsE35device_test_enabled_for_warp_size_vIXT1_EEEvE4typeEPT_S4_i
    .private_segment_fixed_size: 0
    .sgpr_count:     0
    .sgpr_spill_count: 0
    .symbol:         _Z24warp_reduce_valid_kernelIiLj256ELj64EENSt9enable_ifIXntsr10test_utilsE35device_test_enabled_for_warp_size_vIXT1_EEEvE4typeEPT_S4_i.kd
    .uniform_work_group_size: 1
    .uses_dynamic_stack: false
    .vgpr_count:     0
    .vgpr_spill_count: 0
    .wavefront_size: 32
    .workgroup_processor_mode: 1
  - .args:
      - .address_space:  global
        .offset:         0
        .size:           8
        .value_kind:     global_buffer
      - .address_space:  global
        .offset:         8
        .size:           8
        .value_kind:     global_buffer
      - .offset:         16
        .size:           4
        .value_kind:     by_value
      - .offset:         24
        .size:           4
        .value_kind:     hidden_block_count_x
      - .offset:         28
        .size:           4
        .value_kind:     hidden_block_count_y
      - .offset:         32
        .size:           4
        .value_kind:     hidden_block_count_z
      - .offset:         36
        .size:           2
        .value_kind:     hidden_group_size_x
      - .offset:         38
        .size:           2
        .value_kind:     hidden_group_size_y
      - .offset:         40
        .size:           2
        .value_kind:     hidden_group_size_z
      - .offset:         42
        .size:           2
        .value_kind:     hidden_remainder_x
      - .offset:         44
        .size:           2
        .value_kind:     hidden_remainder_y
      - .offset:         46
        .size:           2
        .value_kind:     hidden_remainder_z
      - .offset:         64
        .size:           8
        .value_kind:     hidden_global_offset_x
      - .offset:         72
        .size:           8
        .value_kind:     hidden_global_offset_y
      - .offset:         80
        .size:           8
        .value_kind:     hidden_global_offset_z
      - .offset:         88
        .size:           2
        .value_kind:     hidden_grid_dims
    .group_segment_fixed_size: 0
    .kernarg_segment_align: 8
    .kernarg_segment_size: 280
    .language:       OpenCL C
    .language_version:
      - 2
      - 0
    .max_flat_workgroup_size: 128
    .name:           _Z24warp_reduce_valid_kernelIiLj128ELj32EENSt9enable_ifIXsr10test_utilsE35device_test_enabled_for_warp_size_vIXT1_EEEvE4typeEPT_S4_i
    .private_segment_fixed_size: 0
    .sgpr_count:     18
    .sgpr_spill_count: 0
    .symbol:         _Z24warp_reduce_valid_kernelIiLj128ELj32EENSt9enable_ifIXsr10test_utilsE35device_test_enabled_for_warp_size_vIXT1_EEEvE4typeEPT_S4_i.kd
    .uniform_work_group_size: 1
    .uses_dynamic_stack: false
    .vgpr_count:     7
    .vgpr_spill_count: 0
    .wavefront_size: 32
    .workgroup_processor_mode: 1
  - .args:
      - .address_space:  global
        .offset:         0
        .size:           8
        .value_kind:     global_buffer
      - .address_space:  global
        .offset:         8
        .size:           8
        .value_kind:     global_buffer
      - .offset:         16
        .size:           4
        .value_kind:     by_value
      - .offset:         24
        .size:           4
        .value_kind:     hidden_block_count_x
      - .offset:         28
        .size:           4
        .value_kind:     hidden_block_count_y
      - .offset:         32
        .size:           4
        .value_kind:     hidden_block_count_z
      - .offset:         36
        .size:           2
        .value_kind:     hidden_group_size_x
      - .offset:         38
        .size:           2
        .value_kind:     hidden_group_size_y
      - .offset:         40
        .size:           2
        .value_kind:     hidden_group_size_z
      - .offset:         42
        .size:           2
        .value_kind:     hidden_remainder_x
      - .offset:         44
        .size:           2
        .value_kind:     hidden_remainder_y
      - .offset:         46
        .size:           2
        .value_kind:     hidden_remainder_z
      - .offset:         64
        .size:           8
        .value_kind:     hidden_global_offset_x
      - .offset:         72
        .size:           8
        .value_kind:     hidden_global_offset_y
      - .offset:         80
        .size:           8
        .value_kind:     hidden_global_offset_z
      - .offset:         88
        .size:           2
        .value_kind:     hidden_grid_dims
    .group_segment_fixed_size: 0
    .kernarg_segment_align: 8
    .kernarg_segment_size: 280
    .language:       OpenCL C
    .language_version:
      - 2
      - 0
    .max_flat_workgroup_size: 64
    .name:           _Z24warp_reduce_valid_kernelIiLj64ELj16EENSt9enable_ifIXsr10test_utilsE35device_test_enabled_for_warp_size_vIXT1_EEEvE4typeEPT_S4_i
    .private_segment_fixed_size: 0
    .sgpr_count:     18
    .sgpr_spill_count: 0
    .symbol:         _Z24warp_reduce_valid_kernelIiLj64ELj16EENSt9enable_ifIXsr10test_utilsE35device_test_enabled_for_warp_size_vIXT1_EEEvE4typeEPT_S4_i.kd
    .uniform_work_group_size: 1
    .uses_dynamic_stack: false
    .vgpr_count:     8
    .vgpr_spill_count: 0
    .wavefront_size: 32
    .workgroup_processor_mode: 1
  - .args:
      - .address_space:  global
        .offset:         0
        .size:           8
        .value_kind:     global_buffer
      - .address_space:  global
        .offset:         8
        .size:           8
        .value_kind:     global_buffer
      - .offset:         16
        .size:           4
        .value_kind:     by_value
      - .offset:         24
        .size:           4
        .value_kind:     hidden_block_count_x
      - .offset:         28
        .size:           4
        .value_kind:     hidden_block_count_y
      - .offset:         32
        .size:           4
        .value_kind:     hidden_block_count_z
      - .offset:         36
        .size:           2
        .value_kind:     hidden_group_size_x
      - .offset:         38
        .size:           2
        .value_kind:     hidden_group_size_y
      - .offset:         40
        .size:           2
        .value_kind:     hidden_group_size_z
      - .offset:         42
        .size:           2
        .value_kind:     hidden_remainder_x
      - .offset:         44
        .size:           2
        .value_kind:     hidden_remainder_y
      - .offset:         46
        .size:           2
        .value_kind:     hidden_remainder_z
      - .offset:         64
        .size:           8
        .value_kind:     hidden_global_offset_x
      - .offset:         72
        .size:           8
        .value_kind:     hidden_global_offset_y
      - .offset:         80
        .size:           8
        .value_kind:     hidden_global_offset_z
      - .offset:         88
        .size:           2
        .value_kind:     hidden_grid_dims
    .group_segment_fixed_size: 0
    .kernarg_segment_align: 8
    .kernarg_segment_size: 280
    .language:       OpenCL C
    .language_version:
      - 2
      - 0
    .max_flat_workgroup_size: 32
    .name:           _Z24warp_reduce_valid_kernelIiLj32ELj8EENSt9enable_ifIXsr10test_utilsE35device_test_enabled_for_warp_size_vIXT1_EEEvE4typeEPT_S4_i
    .private_segment_fixed_size: 0
    .sgpr_count:     18
    .sgpr_spill_count: 0
    .symbol:         _Z24warp_reduce_valid_kernelIiLj32ELj8EENSt9enable_ifIXsr10test_utilsE35device_test_enabled_for_warp_size_vIXT1_EEEvE4typeEPT_S4_i.kd
    .uniform_work_group_size: 1
    .uses_dynamic_stack: false
    .vgpr_count:     8
    .vgpr_spill_count: 0
    .wavefront_size: 32
    .workgroup_processor_mode: 1
  - .args:
      - .address_space:  global
        .offset:         0
        .size:           8
        .value_kind:     global_buffer
      - .address_space:  global
        .offset:         8
        .size:           8
        .value_kind:     global_buffer
      - .offset:         16
        .size:           4
        .value_kind:     by_value
      - .offset:         24
        .size:           4
        .value_kind:     hidden_block_count_x
      - .offset:         28
        .size:           4
        .value_kind:     hidden_block_count_y
      - .offset:         32
        .size:           4
        .value_kind:     hidden_block_count_z
      - .offset:         36
        .size:           2
        .value_kind:     hidden_group_size_x
      - .offset:         38
        .size:           2
        .value_kind:     hidden_group_size_y
      - .offset:         40
        .size:           2
        .value_kind:     hidden_group_size_z
      - .offset:         42
        .size:           2
        .value_kind:     hidden_remainder_x
      - .offset:         44
        .size:           2
        .value_kind:     hidden_remainder_y
      - .offset:         46
        .size:           2
        .value_kind:     hidden_remainder_z
      - .offset:         64
        .size:           8
        .value_kind:     hidden_global_offset_x
      - .offset:         72
        .size:           8
        .value_kind:     hidden_global_offset_y
      - .offset:         80
        .size:           8
        .value_kind:     hidden_global_offset_z
      - .offset:         88
        .size:           2
        .value_kind:     hidden_grid_dims
    .group_segment_fixed_size: 0
    .kernarg_segment_align: 8
    .kernarg_segment_size: 280
    .language:       OpenCL C
    .language_version:
      - 2
      - 0
    .max_flat_workgroup_size: 64
    .name:           _Z24warp_reduce_valid_kernelIiLj64ELj8EENSt9enable_ifIXsr10test_utilsE35device_test_enabled_for_warp_size_vIXT1_EEEvE4typeEPT_S4_i
    .private_segment_fixed_size: 0
    .sgpr_count:     18
    .sgpr_spill_count: 0
    .symbol:         _Z24warp_reduce_valid_kernelIiLj64ELj8EENSt9enable_ifIXsr10test_utilsE35device_test_enabled_for_warp_size_vIXT1_EEEvE4typeEPT_S4_i.kd
    .uniform_work_group_size: 1
    .uses_dynamic_stack: false
    .vgpr_count:     8
    .vgpr_spill_count: 0
    .wavefront_size: 32
    .workgroup_processor_mode: 1
  - .args:
      - .address_space:  global
        .offset:         0
        .size:           8
        .value_kind:     global_buffer
      - .address_space:  global
        .offset:         8
        .size:           8
        .value_kind:     global_buffer
      - .offset:         16
        .size:           4
        .value_kind:     by_value
      - .offset:         24
        .size:           4
        .value_kind:     hidden_block_count_x
      - .offset:         28
        .size:           4
        .value_kind:     hidden_block_count_y
      - .offset:         32
        .size:           4
        .value_kind:     hidden_block_count_z
      - .offset:         36
        .size:           2
        .value_kind:     hidden_group_size_x
      - .offset:         38
        .size:           2
        .value_kind:     hidden_group_size_y
      - .offset:         40
        .size:           2
        .value_kind:     hidden_group_size_z
      - .offset:         42
        .size:           2
        .value_kind:     hidden_remainder_x
      - .offset:         44
        .size:           2
        .value_kind:     hidden_remainder_y
      - .offset:         46
        .size:           2
        .value_kind:     hidden_remainder_z
      - .offset:         64
        .size:           8
        .value_kind:     hidden_global_offset_x
      - .offset:         72
        .size:           8
        .value_kind:     hidden_global_offset_y
      - .offset:         80
        .size:           8
        .value_kind:     hidden_global_offset_z
      - .offset:         88
        .size:           2
        .value_kind:     hidden_grid_dims
    .group_segment_fixed_size: 0
    .kernarg_segment_align: 8
    .kernarg_segment_size: 280
    .language:       OpenCL C
    .language_version:
      - 2
      - 0
    .max_flat_workgroup_size: 32
    .name:           _Z24warp_reduce_valid_kernelIiLj32ELj4EENSt9enable_ifIXsr10test_utilsE35device_test_enabled_for_warp_size_vIXT1_EEEvE4typeEPT_S4_i
    .private_segment_fixed_size: 0
    .sgpr_count:     18
    .sgpr_spill_count: 0
    .symbol:         _Z24warp_reduce_valid_kernelIiLj32ELj4EENSt9enable_ifIXsr10test_utilsE35device_test_enabled_for_warp_size_vIXT1_EEEvE4typeEPT_S4_i.kd
    .uniform_work_group_size: 1
    .uses_dynamic_stack: false
    .vgpr_count:     8
    .vgpr_spill_count: 0
    .wavefront_size: 32
    .workgroup_processor_mode: 1
  - .args:
      - .address_space:  global
        .offset:         0
        .size:           8
        .value_kind:     global_buffer
      - .address_space:  global
        .offset:         8
        .size:           8
        .value_kind:     global_buffer
      - .offset:         16
        .size:           4
        .value_kind:     by_value
      - .offset:         24
        .size:           4
        .value_kind:     hidden_block_count_x
      - .offset:         28
        .size:           4
        .value_kind:     hidden_block_count_y
      - .offset:         32
        .size:           4
        .value_kind:     hidden_block_count_z
      - .offset:         36
        .size:           2
        .value_kind:     hidden_group_size_x
      - .offset:         38
        .size:           2
        .value_kind:     hidden_group_size_y
      - .offset:         40
        .size:           2
        .value_kind:     hidden_group_size_z
      - .offset:         42
        .size:           2
        .value_kind:     hidden_remainder_x
      - .offset:         44
        .size:           2
        .value_kind:     hidden_remainder_y
      - .offset:         46
        .size:           2
        .value_kind:     hidden_remainder_z
      - .offset:         64
        .size:           8
        .value_kind:     hidden_global_offset_x
      - .offset:         72
        .size:           8
        .value_kind:     hidden_global_offset_y
      - .offset:         80
        .size:           8
        .value_kind:     hidden_global_offset_z
      - .offset:         88
        .size:           2
        .value_kind:     hidden_grid_dims
    .group_segment_fixed_size: 0
    .kernarg_segment_align: 8
    .kernarg_segment_size: 280
    .language:       OpenCL C
    .language_version:
      - 2
      - 0
    .max_flat_workgroup_size: 64
    .name:           _Z24warp_reduce_valid_kernelIiLj64ELj4EENSt9enable_ifIXsr10test_utilsE35device_test_enabled_for_warp_size_vIXT1_EEEvE4typeEPT_S4_i
    .private_segment_fixed_size: 0
    .sgpr_count:     18
    .sgpr_spill_count: 0
    .symbol:         _Z24warp_reduce_valid_kernelIiLj64ELj4EENSt9enable_ifIXsr10test_utilsE35device_test_enabled_for_warp_size_vIXT1_EEEvE4typeEPT_S4_i.kd
    .uniform_work_group_size: 1
    .uses_dynamic_stack: false
    .vgpr_count:     8
    .vgpr_spill_count: 0
    .wavefront_size: 32
    .workgroup_processor_mode: 1
  - .args:
      - .address_space:  global
        .offset:         0
        .size:           8
        .value_kind:     global_buffer
      - .address_space:  global
        .offset:         8
        .size:           8
        .value_kind:     global_buffer
      - .offset:         16
        .size:           4
        .value_kind:     by_value
      - .offset:         24
        .size:           4
        .value_kind:     hidden_block_count_x
      - .offset:         28
        .size:           4
        .value_kind:     hidden_block_count_y
      - .offset:         32
        .size:           4
        .value_kind:     hidden_block_count_z
      - .offset:         36
        .size:           2
        .value_kind:     hidden_group_size_x
      - .offset:         38
        .size:           2
        .value_kind:     hidden_group_size_y
      - .offset:         40
        .size:           2
        .value_kind:     hidden_group_size_z
      - .offset:         42
        .size:           2
        .value_kind:     hidden_remainder_x
      - .offset:         44
        .size:           2
        .value_kind:     hidden_remainder_y
      - .offset:         46
        .size:           2
        .value_kind:     hidden_remainder_z
      - .offset:         64
        .size:           8
        .value_kind:     hidden_global_offset_x
      - .offset:         72
        .size:           8
        .value_kind:     hidden_global_offset_y
      - .offset:         80
        .size:           8
        .value_kind:     hidden_global_offset_z
      - .offset:         88
        .size:           2
        .value_kind:     hidden_grid_dims
    .group_segment_fixed_size: 0
    .kernarg_segment_align: 8
    .kernarg_segment_size: 280
    .language:       OpenCL C
    .language_version:
      - 2
      - 0
    .max_flat_workgroup_size: 32
    .name:           _Z24warp_reduce_valid_kernelIiLj32ELj2EENSt9enable_ifIXsr10test_utilsE35device_test_enabled_for_warp_size_vIXT1_EEEvE4typeEPT_S4_i
    .private_segment_fixed_size: 0
    .sgpr_count:     18
    .sgpr_spill_count: 0
    .symbol:         _Z24warp_reduce_valid_kernelIiLj32ELj2EENSt9enable_ifIXsr10test_utilsE35device_test_enabled_for_warp_size_vIXT1_EEEvE4typeEPT_S4_i.kd
    .uniform_work_group_size: 1
    .uses_dynamic_stack: false
    .vgpr_count:     6
    .vgpr_spill_count: 0
    .wavefront_size: 32
    .workgroup_processor_mode: 1
  - .args:
      - .address_space:  global
        .offset:         0
        .size:           8
        .value_kind:     global_buffer
      - .address_space:  global
        .offset:         8
        .size:           8
        .value_kind:     global_buffer
      - .offset:         16
        .size:           4
        .value_kind:     by_value
      - .offset:         24
        .size:           4
        .value_kind:     hidden_block_count_x
      - .offset:         28
        .size:           4
        .value_kind:     hidden_block_count_y
      - .offset:         32
        .size:           4
        .value_kind:     hidden_block_count_z
      - .offset:         36
        .size:           2
        .value_kind:     hidden_group_size_x
      - .offset:         38
        .size:           2
        .value_kind:     hidden_group_size_y
      - .offset:         40
        .size:           2
        .value_kind:     hidden_group_size_z
      - .offset:         42
        .size:           2
        .value_kind:     hidden_remainder_x
      - .offset:         44
        .size:           2
        .value_kind:     hidden_remainder_y
      - .offset:         46
        .size:           2
        .value_kind:     hidden_remainder_z
      - .offset:         64
        .size:           8
        .value_kind:     hidden_global_offset_x
      - .offset:         72
        .size:           8
        .value_kind:     hidden_global_offset_y
      - .offset:         80
        .size:           8
        .value_kind:     hidden_global_offset_z
      - .offset:         88
        .size:           2
        .value_kind:     hidden_grid_dims
    .group_segment_fixed_size: 0
    .kernarg_segment_align: 8
    .kernarg_segment_size: 280
    .language:       OpenCL C
    .language_version:
      - 2
      - 0
    .max_flat_workgroup_size: 64
    .name:           _Z24warp_reduce_valid_kernelIiLj64ELj2EENSt9enable_ifIXsr10test_utilsE35device_test_enabled_for_warp_size_vIXT1_EEEvE4typeEPT_S4_i
    .private_segment_fixed_size: 0
    .sgpr_count:     18
    .sgpr_spill_count: 0
    .symbol:         _Z24warp_reduce_valid_kernelIiLj64ELj2EENSt9enable_ifIXsr10test_utilsE35device_test_enabled_for_warp_size_vIXT1_EEEvE4typeEPT_S4_i.kd
    .uniform_work_group_size: 1
    .uses_dynamic_stack: false
    .vgpr_count:     6
    .vgpr_spill_count: 0
    .wavefront_size: 32
    .workgroup_processor_mode: 1
  - .args:
      - .address_space:  global
        .offset:         0
        .size:           8
        .value_kind:     global_buffer
      - .address_space:  global
        .offset:         8
        .size:           8
        .value_kind:     global_buffer
      - .offset:         16
        .size:           4
        .value_kind:     by_value
      - .offset:         24
        .size:           4
        .value_kind:     hidden_block_count_x
      - .offset:         28
        .size:           4
        .value_kind:     hidden_block_count_y
      - .offset:         32
        .size:           4
        .value_kind:     hidden_block_count_z
      - .offset:         36
        .size:           2
        .value_kind:     hidden_group_size_x
      - .offset:         38
        .size:           2
        .value_kind:     hidden_group_size_y
      - .offset:         40
        .size:           2
        .value_kind:     hidden_group_size_z
      - .offset:         42
        .size:           2
        .value_kind:     hidden_remainder_x
      - .offset:         44
        .size:           2
        .value_kind:     hidden_remainder_y
      - .offset:         46
        .size:           2
        .value_kind:     hidden_remainder_z
      - .offset:         64
        .size:           8
        .value_kind:     hidden_global_offset_x
      - .offset:         72
        .size:           8
        .value_kind:     hidden_global_offset_y
      - .offset:         80
        .size:           8
        .value_kind:     hidden_global_offset_z
      - .offset:         88
        .size:           2
        .value_kind:     hidden_grid_dims
    .group_segment_fixed_size: 0
    .kernarg_segment_align: 8
    .kernarg_segment_size: 280
    .language:       OpenCL C
    .language_version:
      - 2
      - 0
    .max_flat_workgroup_size: 32
    .name:           _Z24warp_reduce_valid_kernelIiLj32ELj1EENSt9enable_ifIXsr10test_utilsE35device_test_enabled_for_warp_size_vIXT1_EEEvE4typeEPT_S4_i
    .private_segment_fixed_size: 0
    .sgpr_count:     18
    .sgpr_spill_count: 0
    .symbol:         _Z24warp_reduce_valid_kernelIiLj32ELj1EENSt9enable_ifIXsr10test_utilsE35device_test_enabled_for_warp_size_vIXT1_EEEvE4typeEPT_S4_i.kd
    .uniform_work_group_size: 1
    .uses_dynamic_stack: false
    .vgpr_count:     4
    .vgpr_spill_count: 0
    .wavefront_size: 32
    .workgroup_processor_mode: 1
  - .args:
      - .address_space:  global
        .offset:         0
        .size:           8
        .value_kind:     global_buffer
      - .address_space:  global
        .offset:         8
        .size:           8
        .value_kind:     global_buffer
      - .offset:         16
        .size:           4
        .value_kind:     by_value
      - .offset:         24
        .size:           4
        .value_kind:     hidden_block_count_x
      - .offset:         28
        .size:           4
        .value_kind:     hidden_block_count_y
      - .offset:         32
        .size:           4
        .value_kind:     hidden_block_count_z
      - .offset:         36
        .size:           2
        .value_kind:     hidden_group_size_x
      - .offset:         38
        .size:           2
        .value_kind:     hidden_group_size_y
      - .offset:         40
        .size:           2
        .value_kind:     hidden_group_size_z
      - .offset:         42
        .size:           2
        .value_kind:     hidden_remainder_x
      - .offset:         44
        .size:           2
        .value_kind:     hidden_remainder_y
      - .offset:         46
        .size:           2
        .value_kind:     hidden_remainder_z
      - .offset:         64
        .size:           8
        .value_kind:     hidden_global_offset_x
      - .offset:         72
        .size:           8
        .value_kind:     hidden_global_offset_y
      - .offset:         80
        .size:           8
        .value_kind:     hidden_global_offset_z
      - .offset:         88
        .size:           2
        .value_kind:     hidden_grid_dims
    .group_segment_fixed_size: 0
    .kernarg_segment_align: 8
    .kernarg_segment_size: 280
    .language:       OpenCL C
    .language_version:
      - 2
      - 0
    .max_flat_workgroup_size: 64
    .name:           _Z24warp_reduce_valid_kernelIiLj64ELj1EENSt9enable_ifIXsr10test_utilsE35device_test_enabled_for_warp_size_vIXT1_EEEvE4typeEPT_S4_i
    .private_segment_fixed_size: 0
    .sgpr_count:     18
    .sgpr_spill_count: 0
    .symbol:         _Z24warp_reduce_valid_kernelIiLj64ELj1EENSt9enable_ifIXsr10test_utilsE35device_test_enabled_for_warp_size_vIXT1_EEEvE4typeEPT_S4_i.kd
    .uniform_work_group_size: 1
    .uses_dynamic_stack: false
    .vgpr_count:     4
    .vgpr_spill_count: 0
    .wavefront_size: 32
    .workgroup_processor_mode: 1
  - .args:
      - .address_space:  global
        .offset:         0
        .size:           8
        .value_kind:     global_buffer
      - .address_space:  global
        .offset:         8
        .size:           8
        .value_kind:     global_buffer
      - .address_space:  global
        .offset:         16
        .size:           8
        .value_kind:     global_buffer
    .group_segment_fixed_size: 0
    .kernarg_segment_align: 8
    .kernarg_segment_size: 24
    .language:       OpenCL C
    .language_version:
      - 2
      - 0
    .max_flat_workgroup_size: 1
    .name:           _Z33head_segmented_warp_reduce_kernelIfhLj1ELj61EENSt9enable_ifIXntsr10test_utilsE35device_test_enabled_for_warp_size_vIXT2_EEEvE4typeEPT_PT0_S4_
    .private_segment_fixed_size: 0
    .sgpr_count:     0
    .sgpr_spill_count: 0
    .symbol:         _Z33head_segmented_warp_reduce_kernelIfhLj1ELj61EENSt9enable_ifIXntsr10test_utilsE35device_test_enabled_for_warp_size_vIXT2_EEEvE4typeEPT_PT0_S4_.kd
    .uniform_work_group_size: 1
    .uses_dynamic_stack: false
    .vgpr_count:     0
    .vgpr_spill_count: 0
    .wavefront_size: 32
    .workgroup_processor_mode: 1
  - .args:
      - .address_space:  global
        .offset:         0
        .size:           8
        .value_kind:     global_buffer
      - .address_space:  global
        .offset:         8
        .size:           8
        .value_kind:     global_buffer
      - .address_space:  global
        .offset:         16
        .size:           8
        .value_kind:     global_buffer
    .group_segment_fixed_size: 0
    .kernarg_segment_align: 8
    .kernarg_segment_size: 24
    .language:       OpenCL C
    .language_version:
      - 2
      - 0
    .max_flat_workgroup_size: 61
    .name:           _Z33head_segmented_warp_reduce_kernelIfhLj61ELj61EENSt9enable_ifIXntsr10test_utilsE35device_test_enabled_for_warp_size_vIXT2_EEEvE4typeEPT_PT0_S4_
    .private_segment_fixed_size: 0
    .sgpr_count:     0
    .sgpr_spill_count: 0
    .symbol:         _Z33head_segmented_warp_reduce_kernelIfhLj61ELj61EENSt9enable_ifIXntsr10test_utilsE35device_test_enabled_for_warp_size_vIXT2_EEEvE4typeEPT_PT0_S4_.kd
    .uniform_work_group_size: 1
    .uses_dynamic_stack: false
    .vgpr_count:     0
    .vgpr_spill_count: 0
    .wavefront_size: 32
    .workgroup_processor_mode: 1
  - .args:
      - .address_space:  global
        .offset:         0
        .size:           8
        .value_kind:     global_buffer
      - .address_space:  global
        .offset:         8
        .size:           8
        .value_kind:     global_buffer
      - .address_space:  global
        .offset:         16
        .size:           8
        .value_kind:     global_buffer
    .group_segment_fixed_size: 0
    .kernarg_segment_align: 8
    .kernarg_segment_size: 24
    .language:       OpenCL C
    .language_version:
      - 2
      - 0
    .max_flat_workgroup_size: 1
    .name:           _Z33head_segmented_warp_reduce_kernelIfhLj1ELj37EENSt9enable_ifIXntsr10test_utilsE35device_test_enabled_for_warp_size_vIXT2_EEEvE4typeEPT_PT0_S4_
    .private_segment_fixed_size: 0
    .sgpr_count:     0
    .sgpr_spill_count: 0
    .symbol:         _Z33head_segmented_warp_reduce_kernelIfhLj1ELj37EENSt9enable_ifIXntsr10test_utilsE35device_test_enabled_for_warp_size_vIXT2_EEEvE4typeEPT_PT0_S4_.kd
    .uniform_work_group_size: 1
    .uses_dynamic_stack: false
    .vgpr_count:     0
    .vgpr_spill_count: 0
    .wavefront_size: 32
    .workgroup_processor_mode: 1
  - .args:
      - .address_space:  global
        .offset:         0
        .size:           8
        .value_kind:     global_buffer
      - .address_space:  global
        .offset:         8
        .size:           8
        .value_kind:     global_buffer
      - .address_space:  global
        .offset:         16
        .size:           8
        .value_kind:     global_buffer
    .group_segment_fixed_size: 0
    .kernarg_segment_align: 8
    .kernarg_segment_size: 24
    .language:       OpenCL C
    .language_version:
      - 2
      - 0
    .max_flat_workgroup_size: 37
    .name:           _Z33head_segmented_warp_reduce_kernelIfhLj37ELj37EENSt9enable_ifIXntsr10test_utilsE35device_test_enabled_for_warp_size_vIXT2_EEEvE4typeEPT_PT0_S4_
    .private_segment_fixed_size: 0
    .sgpr_count:     0
    .sgpr_spill_count: 0
    .symbol:         _Z33head_segmented_warp_reduce_kernelIfhLj37ELj37EENSt9enable_ifIXntsr10test_utilsE35device_test_enabled_for_warp_size_vIXT2_EEEvE4typeEPT_PT0_S4_.kd
    .uniform_work_group_size: 1
    .uses_dynamic_stack: false
    .vgpr_count:     0
    .vgpr_spill_count: 0
    .wavefront_size: 32
    .workgroup_processor_mode: 1
  - .args:
      - .address_space:  global
        .offset:         0
        .size:           8
        .value_kind:     global_buffer
      - .address_space:  global
        .offset:         8
        .size:           8
        .value_kind:     global_buffer
      - .address_space:  global
        .offset:         16
        .size:           8
        .value_kind:     global_buffer
      - .offset:         24
        .size:           4
        .value_kind:     hidden_block_count_x
      - .offset:         28
        .size:           4
        .value_kind:     hidden_block_count_y
      - .offset:         32
        .size:           4
        .value_kind:     hidden_block_count_z
      - .offset:         36
        .size:           2
        .value_kind:     hidden_group_size_x
      - .offset:         38
        .size:           2
        .value_kind:     hidden_group_size_y
      - .offset:         40
        .size:           2
        .value_kind:     hidden_group_size_z
      - .offset:         42
        .size:           2
        .value_kind:     hidden_remainder_x
      - .offset:         44
        .size:           2
        .value_kind:     hidden_remainder_y
      - .offset:         46
        .size:           2
        .value_kind:     hidden_remainder_z
      - .offset:         64
        .size:           8
        .value_kind:     hidden_global_offset_x
      - .offset:         72
        .size:           8
        .value_kind:     hidden_global_offset_y
      - .offset:         80
        .size:           8
        .value_kind:     hidden_global_offset_z
      - .offset:         88
        .size:           2
        .value_kind:     hidden_grid_dims
    .group_segment_fixed_size: 120
    .kernarg_segment_align: 8
    .kernarg_segment_size: 280
    .language:       OpenCL C
    .language_version:
      - 2
      - 0
    .max_flat_workgroup_size: 30
    .name:           _Z33head_segmented_warp_reduce_kernelIfhLj30ELj15EENSt9enable_ifIXsr10test_utilsE35device_test_enabled_for_warp_size_vIXT2_EEEvE4typeEPT_PT0_S4_
    .private_segment_fixed_size: 0
    .sgpr_count:     18
    .sgpr_spill_count: 0
    .symbol:         _Z33head_segmented_warp_reduce_kernelIfhLj30ELj15EENSt9enable_ifIXsr10test_utilsE35device_test_enabled_for_warp_size_vIXT2_EEEvE4typeEPT_PT0_S4_.kd
    .uniform_work_group_size: 1
    .uses_dynamic_stack: false
    .vgpr_count:     7
    .vgpr_spill_count: 0
    .wavefront_size: 32
    .workgroup_processor_mode: 1
  - .args:
      - .address_space:  global
        .offset:         0
        .size:           8
        .value_kind:     global_buffer
      - .address_space:  global
        .offset:         8
        .size:           8
        .value_kind:     global_buffer
      - .address_space:  global
        .offset:         16
        .size:           8
        .value_kind:     global_buffer
      - .offset:         24
        .size:           4
        .value_kind:     hidden_block_count_x
      - .offset:         28
        .size:           4
        .value_kind:     hidden_block_count_y
      - .offset:         32
        .size:           4
        .value_kind:     hidden_block_count_z
      - .offset:         36
        .size:           2
        .value_kind:     hidden_group_size_x
      - .offset:         38
        .size:           2
        .value_kind:     hidden_group_size_y
      - .offset:         40
        .size:           2
        .value_kind:     hidden_group_size_z
      - .offset:         42
        .size:           2
        .value_kind:     hidden_remainder_x
      - .offset:         44
        .size:           2
        .value_kind:     hidden_remainder_y
      - .offset:         46
        .size:           2
        .value_kind:     hidden_remainder_z
      - .offset:         64
        .size:           8
        .value_kind:     hidden_global_offset_x
      - .offset:         72
        .size:           8
        .value_kind:     hidden_global_offset_y
      - .offset:         80
        .size:           8
        .value_kind:     hidden_global_offset_z
      - .offset:         88
        .size:           2
        .value_kind:     hidden_grid_dims
    .group_segment_fixed_size: 240
    .kernarg_segment_align: 8
    .kernarg_segment_size: 280
    .language:       OpenCL C
    .language_version:
      - 2
      - 0
    .max_flat_workgroup_size: 60
    .name:           _Z33head_segmented_warp_reduce_kernelIfhLj60ELj15EENSt9enable_ifIXsr10test_utilsE35device_test_enabled_for_warp_size_vIXT2_EEEvE4typeEPT_PT0_S4_
    .private_segment_fixed_size: 0
    .sgpr_count:     18
    .sgpr_spill_count: 0
    .symbol:         _Z33head_segmented_warp_reduce_kernelIfhLj60ELj15EENSt9enable_ifIXsr10test_utilsE35device_test_enabled_for_warp_size_vIXT2_EEEvE4typeEPT_PT0_S4_.kd
    .uniform_work_group_size: 1
    .uses_dynamic_stack: false
    .vgpr_count:     7
    .vgpr_spill_count: 0
    .wavefront_size: 32
    .workgroup_processor_mode: 1
  - .args:
      - .address_space:  global
        .offset:         0
        .size:           8
        .value_kind:     global_buffer
      - .address_space:  global
        .offset:         8
        .size:           8
        .value_kind:     global_buffer
      - .address_space:  global
        .offset:         16
        .size:           8
        .value_kind:     global_buffer
      - .offset:         24
        .size:           4
        .value_kind:     hidden_block_count_x
      - .offset:         28
        .size:           4
        .value_kind:     hidden_block_count_y
      - .offset:         32
        .size:           4
        .value_kind:     hidden_block_count_z
      - .offset:         36
        .size:           2
        .value_kind:     hidden_group_size_x
      - .offset:         38
        .size:           2
        .value_kind:     hidden_group_size_y
      - .offset:         40
        .size:           2
        .value_kind:     hidden_group_size_z
      - .offset:         42
        .size:           2
        .value_kind:     hidden_remainder_x
      - .offset:         44
        .size:           2
        .value_kind:     hidden_remainder_y
      - .offset:         46
        .size:           2
        .value_kind:     hidden_remainder_z
      - .offset:         64
        .size:           8
        .value_kind:     hidden_global_offset_x
      - .offset:         72
        .size:           8
        .value_kind:     hidden_global_offset_y
      - .offset:         80
        .size:           8
        .value_kind:     hidden_global_offset_z
      - .offset:         88
        .size:           2
        .value_kind:     hidden_grid_dims
    .group_segment_fixed_size: 112
    .kernarg_segment_align: 8
    .kernarg_segment_size: 280
    .language:       OpenCL C
    .language_version:
      - 2
      - 0
    .max_flat_workgroup_size: 28
    .name:           _Z33head_segmented_warp_reduce_kernelIfhLj28ELj7EENSt9enable_ifIXsr10test_utilsE35device_test_enabled_for_warp_size_vIXT2_EEEvE4typeEPT_PT0_S4_
    .private_segment_fixed_size: 0
    .sgpr_count:     18
    .sgpr_spill_count: 0
    .symbol:         _Z33head_segmented_warp_reduce_kernelIfhLj28ELj7EENSt9enable_ifIXsr10test_utilsE35device_test_enabled_for_warp_size_vIXT2_EEEvE4typeEPT_PT0_S4_.kd
    .uniform_work_group_size: 1
    .uses_dynamic_stack: false
    .vgpr_count:     7
    .vgpr_spill_count: 0
    .wavefront_size: 32
    .workgroup_processor_mode: 1
  - .args:
      - .address_space:  global
        .offset:         0
        .size:           8
        .value_kind:     global_buffer
      - .address_space:  global
        .offset:         8
        .size:           8
        .value_kind:     global_buffer
      - .address_space:  global
        .offset:         16
        .size:           8
        .value_kind:     global_buffer
      - .offset:         24
        .size:           4
        .value_kind:     hidden_block_count_x
      - .offset:         28
        .size:           4
        .value_kind:     hidden_block_count_y
      - .offset:         32
        .size:           4
        .value_kind:     hidden_block_count_z
      - .offset:         36
        .size:           2
        .value_kind:     hidden_group_size_x
      - .offset:         38
        .size:           2
        .value_kind:     hidden_group_size_y
      - .offset:         40
        .size:           2
        .value_kind:     hidden_group_size_z
      - .offset:         42
        .size:           2
        .value_kind:     hidden_remainder_x
      - .offset:         44
        .size:           2
        .value_kind:     hidden_remainder_y
      - .offset:         46
        .size:           2
        .value_kind:     hidden_remainder_z
      - .offset:         64
        .size:           8
        .value_kind:     hidden_global_offset_x
      - .offset:         72
        .size:           8
        .value_kind:     hidden_global_offset_y
      - .offset:         80
        .size:           8
        .value_kind:     hidden_global_offset_z
      - .offset:         88
        .size:           2
        .value_kind:     hidden_grid_dims
    .group_segment_fixed_size: 252
    .kernarg_segment_align: 8
    .kernarg_segment_size: 280
    .language:       OpenCL C
    .language_version:
      - 2
      - 0
    .max_flat_workgroup_size: 63
    .name:           _Z33head_segmented_warp_reduce_kernelIfhLj63ELj7EENSt9enable_ifIXsr10test_utilsE35device_test_enabled_for_warp_size_vIXT2_EEEvE4typeEPT_PT0_S4_
    .private_segment_fixed_size: 0
    .sgpr_count:     18
    .sgpr_spill_count: 0
    .symbol:         _Z33head_segmented_warp_reduce_kernelIfhLj63ELj7EENSt9enable_ifIXsr10test_utilsE35device_test_enabled_for_warp_size_vIXT2_EEEvE4typeEPT_PT0_S4_.kd
    .uniform_work_group_size: 1
    .uses_dynamic_stack: false
    .vgpr_count:     7
    .vgpr_spill_count: 0
    .wavefront_size: 32
    .workgroup_processor_mode: 1
  - .args:
      - .address_space:  global
        .offset:         0
        .size:           8
        .value_kind:     global_buffer
      - .address_space:  global
        .offset:         8
        .size:           8
        .value_kind:     global_buffer
      - .address_space:  global
        .offset:         16
        .size:           8
        .value_kind:     global_buffer
      - .offset:         24
        .size:           4
        .value_kind:     hidden_block_count_x
      - .offset:         28
        .size:           4
        .value_kind:     hidden_block_count_y
      - .offset:         32
        .size:           4
        .value_kind:     hidden_block_count_z
      - .offset:         36
        .size:           2
        .value_kind:     hidden_group_size_x
      - .offset:         38
        .size:           2
        .value_kind:     hidden_group_size_y
      - .offset:         40
        .size:           2
        .value_kind:     hidden_group_size_z
      - .offset:         42
        .size:           2
        .value_kind:     hidden_remainder_x
      - .offset:         44
        .size:           2
        .value_kind:     hidden_remainder_y
      - .offset:         46
        .size:           2
        .value_kind:     hidden_remainder_z
      - .offset:         64
        .size:           8
        .value_kind:     hidden_global_offset_x
      - .offset:         72
        .size:           8
        .value_kind:     hidden_global_offset_y
      - .offset:         80
        .size:           8
        .value_kind:     hidden_global_offset_z
      - .offset:         88
        .size:           2
        .value_kind:     hidden_grid_dims
    .group_segment_fixed_size: 120
    .kernarg_segment_align: 8
    .kernarg_segment_size: 280
    .language:       OpenCL C
    .language_version:
      - 2
      - 0
    .max_flat_workgroup_size: 30
    .name:           _Z33head_segmented_warp_reduce_kernelIfhLj30ELj3EENSt9enable_ifIXsr10test_utilsE35device_test_enabled_for_warp_size_vIXT2_EEEvE4typeEPT_PT0_S4_
    .private_segment_fixed_size: 0
    .sgpr_count:     18
    .sgpr_spill_count: 0
    .symbol:         _Z33head_segmented_warp_reduce_kernelIfhLj30ELj3EENSt9enable_ifIXsr10test_utilsE35device_test_enabled_for_warp_size_vIXT2_EEEvE4typeEPT_PT0_S4_.kd
    .uniform_work_group_size: 1
    .uses_dynamic_stack: false
    .vgpr_count:     7
    .vgpr_spill_count: 0
    .wavefront_size: 32
    .workgroup_processor_mode: 1
  - .args:
      - .address_space:  global
        .offset:         0
        .size:           8
        .value_kind:     global_buffer
      - .address_space:  global
        .offset:         8
        .size:           8
        .value_kind:     global_buffer
      - .address_space:  global
        .offset:         16
        .size:           8
        .value_kind:     global_buffer
      - .offset:         24
        .size:           4
        .value_kind:     hidden_block_count_x
      - .offset:         28
        .size:           4
        .value_kind:     hidden_block_count_y
      - .offset:         32
        .size:           4
        .value_kind:     hidden_block_count_z
      - .offset:         36
        .size:           2
        .value_kind:     hidden_group_size_x
      - .offset:         38
        .size:           2
        .value_kind:     hidden_group_size_y
      - .offset:         40
        .size:           2
        .value_kind:     hidden_group_size_z
      - .offset:         42
        .size:           2
        .value_kind:     hidden_remainder_x
      - .offset:         44
        .size:           2
        .value_kind:     hidden_remainder_y
      - .offset:         46
        .size:           2
        .value_kind:     hidden_remainder_z
      - .offset:         64
        .size:           8
        .value_kind:     hidden_global_offset_x
      - .offset:         72
        .size:           8
        .value_kind:     hidden_global_offset_y
      - .offset:         80
        .size:           8
        .value_kind:     hidden_global_offset_z
      - .offset:         88
        .size:           2
        .value_kind:     hidden_grid_dims
    .group_segment_fixed_size: 252
    .kernarg_segment_align: 8
    .kernarg_segment_size: 280
    .language:       OpenCL C
    .language_version:
      - 2
      - 0
    .max_flat_workgroup_size: 63
    .name:           _Z33head_segmented_warp_reduce_kernelIfhLj63ELj3EENSt9enable_ifIXsr10test_utilsE35device_test_enabled_for_warp_size_vIXT2_EEEvE4typeEPT_PT0_S4_
    .private_segment_fixed_size: 0
    .sgpr_count:     18
    .sgpr_spill_count: 0
    .symbol:         _Z33head_segmented_warp_reduce_kernelIfhLj63ELj3EENSt9enable_ifIXsr10test_utilsE35device_test_enabled_for_warp_size_vIXT2_EEEvE4typeEPT_PT0_S4_.kd
    .uniform_work_group_size: 1
    .uses_dynamic_stack: false
    .vgpr_count:     7
    .vgpr_spill_count: 0
    .wavefront_size: 32
    .workgroup_processor_mode: 1
  - .args:
      - .address_space:  global
        .offset:         0
        .size:           8
        .value_kind:     global_buffer
      - .address_space:  global
        .offset:         8
        .size:           8
        .value_kind:     global_buffer
      - .address_space:  global
        .offset:         16
        .size:           8
        .value_kind:     global_buffer
    .group_segment_fixed_size: 0
    .kernarg_segment_align: 8
    .kernarg_segment_size: 24
    .language:       OpenCL C
    .language_version:
      - 2
      - 0
    .max_flat_workgroup_size: 1
    .name:           _Z33head_segmented_warp_reduce_kernelIihLj1ELj61EENSt9enable_ifIXntsr10test_utilsE35device_test_enabled_for_warp_size_vIXT2_EEEvE4typeEPT_PT0_S4_
    .private_segment_fixed_size: 0
    .sgpr_count:     0
    .sgpr_spill_count: 0
    .symbol:         _Z33head_segmented_warp_reduce_kernelIihLj1ELj61EENSt9enable_ifIXntsr10test_utilsE35device_test_enabled_for_warp_size_vIXT2_EEEvE4typeEPT_PT0_S4_.kd
    .uniform_work_group_size: 1
    .uses_dynamic_stack: false
    .vgpr_count:     0
    .vgpr_spill_count: 0
    .wavefront_size: 32
    .workgroup_processor_mode: 1
  - .args:
      - .address_space:  global
        .offset:         0
        .size:           8
        .value_kind:     global_buffer
      - .address_space:  global
        .offset:         8
        .size:           8
        .value_kind:     global_buffer
      - .address_space:  global
        .offset:         16
        .size:           8
        .value_kind:     global_buffer
    .group_segment_fixed_size: 0
    .kernarg_segment_align: 8
    .kernarg_segment_size: 24
    .language:       OpenCL C
    .language_version:
      - 2
      - 0
    .max_flat_workgroup_size: 61
    .name:           _Z33head_segmented_warp_reduce_kernelIihLj61ELj61EENSt9enable_ifIXntsr10test_utilsE35device_test_enabled_for_warp_size_vIXT2_EEEvE4typeEPT_PT0_S4_
    .private_segment_fixed_size: 0
    .sgpr_count:     0
    .sgpr_spill_count: 0
    .symbol:         _Z33head_segmented_warp_reduce_kernelIihLj61ELj61EENSt9enable_ifIXntsr10test_utilsE35device_test_enabled_for_warp_size_vIXT2_EEEvE4typeEPT_PT0_S4_.kd
    .uniform_work_group_size: 1
    .uses_dynamic_stack: false
    .vgpr_count:     0
    .vgpr_spill_count: 0
    .wavefront_size: 32
    .workgroup_processor_mode: 1
  - .args:
      - .address_space:  global
        .offset:         0
        .size:           8
        .value_kind:     global_buffer
      - .address_space:  global
        .offset:         8
        .size:           8
        .value_kind:     global_buffer
      - .address_space:  global
        .offset:         16
        .size:           8
        .value_kind:     global_buffer
    .group_segment_fixed_size: 0
    .kernarg_segment_align: 8
    .kernarg_segment_size: 24
    .language:       OpenCL C
    .language_version:
      - 2
      - 0
    .max_flat_workgroup_size: 1
    .name:           _Z33head_segmented_warp_reduce_kernelIihLj1ELj37EENSt9enable_ifIXntsr10test_utilsE35device_test_enabled_for_warp_size_vIXT2_EEEvE4typeEPT_PT0_S4_
    .private_segment_fixed_size: 0
    .sgpr_count:     0
    .sgpr_spill_count: 0
    .symbol:         _Z33head_segmented_warp_reduce_kernelIihLj1ELj37EENSt9enable_ifIXntsr10test_utilsE35device_test_enabled_for_warp_size_vIXT2_EEEvE4typeEPT_PT0_S4_.kd
    .uniform_work_group_size: 1
    .uses_dynamic_stack: false
    .vgpr_count:     0
    .vgpr_spill_count: 0
    .wavefront_size: 32
    .workgroup_processor_mode: 1
  - .args:
      - .address_space:  global
        .offset:         0
        .size:           8
        .value_kind:     global_buffer
      - .address_space:  global
        .offset:         8
        .size:           8
        .value_kind:     global_buffer
      - .address_space:  global
        .offset:         16
        .size:           8
        .value_kind:     global_buffer
    .group_segment_fixed_size: 0
    .kernarg_segment_align: 8
    .kernarg_segment_size: 24
    .language:       OpenCL C
    .language_version:
      - 2
      - 0
    .max_flat_workgroup_size: 37
    .name:           _Z33head_segmented_warp_reduce_kernelIihLj37ELj37EENSt9enable_ifIXntsr10test_utilsE35device_test_enabled_for_warp_size_vIXT2_EEEvE4typeEPT_PT0_S4_
    .private_segment_fixed_size: 0
    .sgpr_count:     0
    .sgpr_spill_count: 0
    .symbol:         _Z33head_segmented_warp_reduce_kernelIihLj37ELj37EENSt9enable_ifIXntsr10test_utilsE35device_test_enabled_for_warp_size_vIXT2_EEEvE4typeEPT_PT0_S4_.kd
    .uniform_work_group_size: 1
    .uses_dynamic_stack: false
    .vgpr_count:     0
    .vgpr_spill_count: 0
    .wavefront_size: 32
    .workgroup_processor_mode: 1
  - .args:
      - .address_space:  global
        .offset:         0
        .size:           8
        .value_kind:     global_buffer
      - .address_space:  global
        .offset:         8
        .size:           8
        .value_kind:     global_buffer
      - .address_space:  global
        .offset:         16
        .size:           8
        .value_kind:     global_buffer
      - .offset:         24
        .size:           4
        .value_kind:     hidden_block_count_x
      - .offset:         28
        .size:           4
        .value_kind:     hidden_block_count_y
      - .offset:         32
        .size:           4
        .value_kind:     hidden_block_count_z
      - .offset:         36
        .size:           2
        .value_kind:     hidden_group_size_x
      - .offset:         38
        .size:           2
        .value_kind:     hidden_group_size_y
      - .offset:         40
        .size:           2
        .value_kind:     hidden_group_size_z
      - .offset:         42
        .size:           2
        .value_kind:     hidden_remainder_x
      - .offset:         44
        .size:           2
        .value_kind:     hidden_remainder_y
      - .offset:         46
        .size:           2
        .value_kind:     hidden_remainder_z
      - .offset:         64
        .size:           8
        .value_kind:     hidden_global_offset_x
      - .offset:         72
        .size:           8
        .value_kind:     hidden_global_offset_y
      - .offset:         80
        .size:           8
        .value_kind:     hidden_global_offset_z
      - .offset:         88
        .size:           2
        .value_kind:     hidden_grid_dims
    .group_segment_fixed_size: 120
    .kernarg_segment_align: 8
    .kernarg_segment_size: 280
    .language:       OpenCL C
    .language_version:
      - 2
      - 0
    .max_flat_workgroup_size: 30
    .name:           _Z33head_segmented_warp_reduce_kernelIihLj30ELj15EENSt9enable_ifIXsr10test_utilsE35device_test_enabled_for_warp_size_vIXT2_EEEvE4typeEPT_PT0_S4_
    .private_segment_fixed_size: 0
    .sgpr_count:     18
    .sgpr_spill_count: 0
    .symbol:         _Z33head_segmented_warp_reduce_kernelIihLj30ELj15EENSt9enable_ifIXsr10test_utilsE35device_test_enabled_for_warp_size_vIXT2_EEEvE4typeEPT_PT0_S4_.kd
    .uniform_work_group_size: 1
    .uses_dynamic_stack: false
    .vgpr_count:     7
    .vgpr_spill_count: 0
    .wavefront_size: 32
    .workgroup_processor_mode: 1
  - .args:
      - .address_space:  global
        .offset:         0
        .size:           8
        .value_kind:     global_buffer
      - .address_space:  global
        .offset:         8
        .size:           8
        .value_kind:     global_buffer
      - .address_space:  global
        .offset:         16
        .size:           8
        .value_kind:     global_buffer
      - .offset:         24
        .size:           4
        .value_kind:     hidden_block_count_x
      - .offset:         28
        .size:           4
        .value_kind:     hidden_block_count_y
      - .offset:         32
        .size:           4
        .value_kind:     hidden_block_count_z
      - .offset:         36
        .size:           2
        .value_kind:     hidden_group_size_x
      - .offset:         38
        .size:           2
        .value_kind:     hidden_group_size_y
      - .offset:         40
        .size:           2
        .value_kind:     hidden_group_size_z
      - .offset:         42
        .size:           2
        .value_kind:     hidden_remainder_x
      - .offset:         44
        .size:           2
        .value_kind:     hidden_remainder_y
      - .offset:         46
        .size:           2
        .value_kind:     hidden_remainder_z
      - .offset:         64
        .size:           8
        .value_kind:     hidden_global_offset_x
      - .offset:         72
        .size:           8
        .value_kind:     hidden_global_offset_y
      - .offset:         80
        .size:           8
        .value_kind:     hidden_global_offset_z
      - .offset:         88
        .size:           2
        .value_kind:     hidden_grid_dims
    .group_segment_fixed_size: 240
    .kernarg_segment_align: 8
    .kernarg_segment_size: 280
    .language:       OpenCL C
    .language_version:
      - 2
      - 0
    .max_flat_workgroup_size: 60
    .name:           _Z33head_segmented_warp_reduce_kernelIihLj60ELj15EENSt9enable_ifIXsr10test_utilsE35device_test_enabled_for_warp_size_vIXT2_EEEvE4typeEPT_PT0_S4_
    .private_segment_fixed_size: 0
    .sgpr_count:     18
    .sgpr_spill_count: 0
    .symbol:         _Z33head_segmented_warp_reduce_kernelIihLj60ELj15EENSt9enable_ifIXsr10test_utilsE35device_test_enabled_for_warp_size_vIXT2_EEEvE4typeEPT_PT0_S4_.kd
    .uniform_work_group_size: 1
    .uses_dynamic_stack: false
    .vgpr_count:     7
    .vgpr_spill_count: 0
    .wavefront_size: 32
    .workgroup_processor_mode: 1
  - .args:
      - .address_space:  global
        .offset:         0
        .size:           8
        .value_kind:     global_buffer
      - .address_space:  global
        .offset:         8
        .size:           8
        .value_kind:     global_buffer
      - .address_space:  global
        .offset:         16
        .size:           8
        .value_kind:     global_buffer
      - .offset:         24
        .size:           4
        .value_kind:     hidden_block_count_x
      - .offset:         28
        .size:           4
        .value_kind:     hidden_block_count_y
      - .offset:         32
        .size:           4
        .value_kind:     hidden_block_count_z
      - .offset:         36
        .size:           2
        .value_kind:     hidden_group_size_x
      - .offset:         38
        .size:           2
        .value_kind:     hidden_group_size_y
      - .offset:         40
        .size:           2
        .value_kind:     hidden_group_size_z
      - .offset:         42
        .size:           2
        .value_kind:     hidden_remainder_x
      - .offset:         44
        .size:           2
        .value_kind:     hidden_remainder_y
      - .offset:         46
        .size:           2
        .value_kind:     hidden_remainder_z
      - .offset:         64
        .size:           8
        .value_kind:     hidden_global_offset_x
      - .offset:         72
        .size:           8
        .value_kind:     hidden_global_offset_y
      - .offset:         80
        .size:           8
        .value_kind:     hidden_global_offset_z
      - .offset:         88
        .size:           2
        .value_kind:     hidden_grid_dims
    .group_segment_fixed_size: 112
    .kernarg_segment_align: 8
    .kernarg_segment_size: 280
    .language:       OpenCL C
    .language_version:
      - 2
      - 0
    .max_flat_workgroup_size: 28
    .name:           _Z33head_segmented_warp_reduce_kernelIihLj28ELj7EENSt9enable_ifIXsr10test_utilsE35device_test_enabled_for_warp_size_vIXT2_EEEvE4typeEPT_PT0_S4_
    .private_segment_fixed_size: 0
    .sgpr_count:     18
    .sgpr_spill_count: 0
    .symbol:         _Z33head_segmented_warp_reduce_kernelIihLj28ELj7EENSt9enable_ifIXsr10test_utilsE35device_test_enabled_for_warp_size_vIXT2_EEEvE4typeEPT_PT0_S4_.kd
    .uniform_work_group_size: 1
    .uses_dynamic_stack: false
    .vgpr_count:     7
    .vgpr_spill_count: 0
    .wavefront_size: 32
    .workgroup_processor_mode: 1
  - .args:
      - .address_space:  global
        .offset:         0
        .size:           8
        .value_kind:     global_buffer
      - .address_space:  global
        .offset:         8
        .size:           8
        .value_kind:     global_buffer
      - .address_space:  global
        .offset:         16
        .size:           8
        .value_kind:     global_buffer
      - .offset:         24
        .size:           4
        .value_kind:     hidden_block_count_x
      - .offset:         28
        .size:           4
        .value_kind:     hidden_block_count_y
      - .offset:         32
        .size:           4
        .value_kind:     hidden_block_count_z
      - .offset:         36
        .size:           2
        .value_kind:     hidden_group_size_x
      - .offset:         38
        .size:           2
        .value_kind:     hidden_group_size_y
      - .offset:         40
        .size:           2
        .value_kind:     hidden_group_size_z
      - .offset:         42
        .size:           2
        .value_kind:     hidden_remainder_x
      - .offset:         44
        .size:           2
        .value_kind:     hidden_remainder_y
      - .offset:         46
        .size:           2
        .value_kind:     hidden_remainder_z
      - .offset:         64
        .size:           8
        .value_kind:     hidden_global_offset_x
      - .offset:         72
        .size:           8
        .value_kind:     hidden_global_offset_y
      - .offset:         80
        .size:           8
        .value_kind:     hidden_global_offset_z
      - .offset:         88
        .size:           2
        .value_kind:     hidden_grid_dims
    .group_segment_fixed_size: 252
    .kernarg_segment_align: 8
    .kernarg_segment_size: 280
    .language:       OpenCL C
    .language_version:
      - 2
      - 0
    .max_flat_workgroup_size: 63
    .name:           _Z33head_segmented_warp_reduce_kernelIihLj63ELj7EENSt9enable_ifIXsr10test_utilsE35device_test_enabled_for_warp_size_vIXT2_EEEvE4typeEPT_PT0_S4_
    .private_segment_fixed_size: 0
    .sgpr_count:     18
    .sgpr_spill_count: 0
    .symbol:         _Z33head_segmented_warp_reduce_kernelIihLj63ELj7EENSt9enable_ifIXsr10test_utilsE35device_test_enabled_for_warp_size_vIXT2_EEEvE4typeEPT_PT0_S4_.kd
    .uniform_work_group_size: 1
    .uses_dynamic_stack: false
    .vgpr_count:     7
    .vgpr_spill_count: 0
    .wavefront_size: 32
    .workgroup_processor_mode: 1
  - .args:
      - .address_space:  global
        .offset:         0
        .size:           8
        .value_kind:     global_buffer
      - .address_space:  global
        .offset:         8
        .size:           8
        .value_kind:     global_buffer
      - .address_space:  global
        .offset:         16
        .size:           8
        .value_kind:     global_buffer
      - .offset:         24
        .size:           4
        .value_kind:     hidden_block_count_x
      - .offset:         28
        .size:           4
        .value_kind:     hidden_block_count_y
      - .offset:         32
        .size:           4
        .value_kind:     hidden_block_count_z
      - .offset:         36
        .size:           2
        .value_kind:     hidden_group_size_x
      - .offset:         38
        .size:           2
        .value_kind:     hidden_group_size_y
      - .offset:         40
        .size:           2
        .value_kind:     hidden_group_size_z
      - .offset:         42
        .size:           2
        .value_kind:     hidden_remainder_x
      - .offset:         44
        .size:           2
        .value_kind:     hidden_remainder_y
      - .offset:         46
        .size:           2
        .value_kind:     hidden_remainder_z
      - .offset:         64
        .size:           8
        .value_kind:     hidden_global_offset_x
      - .offset:         72
        .size:           8
        .value_kind:     hidden_global_offset_y
      - .offset:         80
        .size:           8
        .value_kind:     hidden_global_offset_z
      - .offset:         88
        .size:           2
        .value_kind:     hidden_grid_dims
    .group_segment_fixed_size: 120
    .kernarg_segment_align: 8
    .kernarg_segment_size: 280
    .language:       OpenCL C
    .language_version:
      - 2
      - 0
    .max_flat_workgroup_size: 30
    .name:           _Z33head_segmented_warp_reduce_kernelIihLj30ELj3EENSt9enable_ifIXsr10test_utilsE35device_test_enabled_for_warp_size_vIXT2_EEEvE4typeEPT_PT0_S4_
    .private_segment_fixed_size: 0
    .sgpr_count:     18
    .sgpr_spill_count: 0
    .symbol:         _Z33head_segmented_warp_reduce_kernelIihLj30ELj3EENSt9enable_ifIXsr10test_utilsE35device_test_enabled_for_warp_size_vIXT2_EEEvE4typeEPT_PT0_S4_.kd
    .uniform_work_group_size: 1
    .uses_dynamic_stack: false
    .vgpr_count:     7
    .vgpr_spill_count: 0
    .wavefront_size: 32
    .workgroup_processor_mode: 1
  - .args:
      - .address_space:  global
        .offset:         0
        .size:           8
        .value_kind:     global_buffer
      - .address_space:  global
        .offset:         8
        .size:           8
        .value_kind:     global_buffer
      - .address_space:  global
        .offset:         16
        .size:           8
        .value_kind:     global_buffer
      - .offset:         24
        .size:           4
        .value_kind:     hidden_block_count_x
      - .offset:         28
        .size:           4
        .value_kind:     hidden_block_count_y
      - .offset:         32
        .size:           4
        .value_kind:     hidden_block_count_z
      - .offset:         36
        .size:           2
        .value_kind:     hidden_group_size_x
      - .offset:         38
        .size:           2
        .value_kind:     hidden_group_size_y
      - .offset:         40
        .size:           2
        .value_kind:     hidden_group_size_z
      - .offset:         42
        .size:           2
        .value_kind:     hidden_remainder_x
      - .offset:         44
        .size:           2
        .value_kind:     hidden_remainder_y
      - .offset:         46
        .size:           2
        .value_kind:     hidden_remainder_z
      - .offset:         64
        .size:           8
        .value_kind:     hidden_global_offset_x
      - .offset:         72
        .size:           8
        .value_kind:     hidden_global_offset_y
      - .offset:         80
        .size:           8
        .value_kind:     hidden_global_offset_z
      - .offset:         88
        .size:           2
        .value_kind:     hidden_grid_dims
    .group_segment_fixed_size: 252
    .kernarg_segment_align: 8
    .kernarg_segment_size: 280
    .language:       OpenCL C
    .language_version:
      - 2
      - 0
    .max_flat_workgroup_size: 63
    .name:           _Z33head_segmented_warp_reduce_kernelIihLj63ELj3EENSt9enable_ifIXsr10test_utilsE35device_test_enabled_for_warp_size_vIXT2_EEEvE4typeEPT_PT0_S4_
    .private_segment_fixed_size: 0
    .sgpr_count:     18
    .sgpr_spill_count: 0
    .symbol:         _Z33head_segmented_warp_reduce_kernelIihLj63ELj3EENSt9enable_ifIXsr10test_utilsE35device_test_enabled_for_warp_size_vIXT2_EEEvE4typeEPT_PT0_S4_.kd
    .uniform_work_group_size: 1
    .uses_dynamic_stack: false
    .vgpr_count:     7
    .vgpr_spill_count: 0
    .wavefront_size: 32
    .workgroup_processor_mode: 1
  - .args:
      - .address_space:  global
        .offset:         0
        .size:           8
        .value_kind:     global_buffer
      - .address_space:  global
        .offset:         8
        .size:           8
        .value_kind:     global_buffer
      - .address_space:  global
        .offset:         16
        .size:           8
        .value_kind:     global_buffer
    .group_segment_fixed_size: 0
    .kernarg_segment_align: 8
    .kernarg_segment_size: 24
    .language:       OpenCL C
    .language_version:
      - 2
      - 0
    .max_flat_workgroup_size: 256
    .name:           _Z33head_segmented_warp_reduce_kernelI12hip_bfloat16hLj256ELj64EENSt9enable_ifIXntsr10test_utilsE35device_test_enabled_for_warp_size_vIXT2_EEEvE4typeEPT_PT0_S5_
    .private_segment_fixed_size: 0
    .sgpr_count:     0
    .sgpr_spill_count: 0
    .symbol:         _Z33head_segmented_warp_reduce_kernelI12hip_bfloat16hLj256ELj64EENSt9enable_ifIXntsr10test_utilsE35device_test_enabled_for_warp_size_vIXT2_EEEvE4typeEPT_PT0_S5_.kd
    .uniform_work_group_size: 1
    .uses_dynamic_stack: false
    .vgpr_count:     0
    .vgpr_spill_count: 0
    .wavefront_size: 32
    .workgroup_processor_mode: 1
  - .args:
      - .address_space:  global
        .offset:         0
        .size:           8
        .value_kind:     global_buffer
      - .address_space:  global
        .offset:         8
        .size:           8
        .value_kind:     global_buffer
      - .address_space:  global
        .offset:         16
        .size:           8
        .value_kind:     global_buffer
      - .offset:         24
        .size:           4
        .value_kind:     hidden_block_count_x
      - .offset:         28
        .size:           4
        .value_kind:     hidden_block_count_y
      - .offset:         32
        .size:           4
        .value_kind:     hidden_block_count_z
      - .offset:         36
        .size:           2
        .value_kind:     hidden_group_size_x
      - .offset:         38
        .size:           2
        .value_kind:     hidden_group_size_y
      - .offset:         40
        .size:           2
        .value_kind:     hidden_group_size_z
      - .offset:         42
        .size:           2
        .value_kind:     hidden_remainder_x
      - .offset:         44
        .size:           2
        .value_kind:     hidden_remainder_y
      - .offset:         46
        .size:           2
        .value_kind:     hidden_remainder_z
      - .offset:         64
        .size:           8
        .value_kind:     hidden_global_offset_x
      - .offset:         72
        .size:           8
        .value_kind:     hidden_global_offset_y
      - .offset:         80
        .size:           8
        .value_kind:     hidden_global_offset_z
      - .offset:         88
        .size:           2
        .value_kind:     hidden_grid_dims
    .group_segment_fixed_size: 0
    .kernarg_segment_align: 8
    .kernarg_segment_size: 280
    .language:       OpenCL C
    .language_version:
      - 2
      - 0
    .max_flat_workgroup_size: 128
    .name:           _Z33head_segmented_warp_reduce_kernelI12hip_bfloat16hLj128ELj32EENSt9enable_ifIXsr10test_utilsE35device_test_enabled_for_warp_size_vIXT2_EEEvE4typeEPT_PT0_S5_
    .private_segment_fixed_size: 0
    .sgpr_count:     18
    .sgpr_spill_count: 0
    .symbol:         _Z33head_segmented_warp_reduce_kernelI12hip_bfloat16hLj128ELj32EENSt9enable_ifIXsr10test_utilsE35device_test_enabled_for_warp_size_vIXT2_EEEvE4typeEPT_PT0_S5_.kd
    .uniform_work_group_size: 1
    .uses_dynamic_stack: false
    .vgpr_count:     8
    .vgpr_spill_count: 0
    .wavefront_size: 32
    .workgroup_processor_mode: 1
  - .args:
      - .address_space:  global
        .offset:         0
        .size:           8
        .value_kind:     global_buffer
      - .address_space:  global
        .offset:         8
        .size:           8
        .value_kind:     global_buffer
      - .address_space:  global
        .offset:         16
        .size:           8
        .value_kind:     global_buffer
      - .offset:         24
        .size:           4
        .value_kind:     hidden_block_count_x
      - .offset:         28
        .size:           4
        .value_kind:     hidden_block_count_y
      - .offset:         32
        .size:           4
        .value_kind:     hidden_block_count_z
      - .offset:         36
        .size:           2
        .value_kind:     hidden_group_size_x
      - .offset:         38
        .size:           2
        .value_kind:     hidden_group_size_y
      - .offset:         40
        .size:           2
        .value_kind:     hidden_group_size_z
      - .offset:         42
        .size:           2
        .value_kind:     hidden_remainder_x
      - .offset:         44
        .size:           2
        .value_kind:     hidden_remainder_y
      - .offset:         46
        .size:           2
        .value_kind:     hidden_remainder_z
      - .offset:         64
        .size:           8
        .value_kind:     hidden_global_offset_x
      - .offset:         72
        .size:           8
        .value_kind:     hidden_global_offset_y
      - .offset:         80
        .size:           8
        .value_kind:     hidden_global_offset_z
      - .offset:         88
        .size:           2
        .value_kind:     hidden_grid_dims
    .group_segment_fixed_size: 0
    .kernarg_segment_align: 8
    .kernarg_segment_size: 280
    .language:       OpenCL C
    .language_version:
      - 2
      - 0
    .max_flat_workgroup_size: 64
    .name:           _Z33head_segmented_warp_reduce_kernelI12hip_bfloat16hLj64ELj16EENSt9enable_ifIXsr10test_utilsE35device_test_enabled_for_warp_size_vIXT2_EEEvE4typeEPT_PT0_S5_
    .private_segment_fixed_size: 0
    .sgpr_count:     18
    .sgpr_spill_count: 0
    .symbol:         _Z33head_segmented_warp_reduce_kernelI12hip_bfloat16hLj64ELj16EENSt9enable_ifIXsr10test_utilsE35device_test_enabled_for_warp_size_vIXT2_EEEvE4typeEPT_PT0_S5_.kd
    .uniform_work_group_size: 1
    .uses_dynamic_stack: false
    .vgpr_count:     9
    .vgpr_spill_count: 0
    .wavefront_size: 32
    .workgroup_processor_mode: 1
  - .args:
      - .address_space:  global
        .offset:         0
        .size:           8
        .value_kind:     global_buffer
      - .address_space:  global
        .offset:         8
        .size:           8
        .value_kind:     global_buffer
      - .address_space:  global
        .offset:         16
        .size:           8
        .value_kind:     global_buffer
      - .offset:         24
        .size:           4
        .value_kind:     hidden_block_count_x
      - .offset:         28
        .size:           4
        .value_kind:     hidden_block_count_y
      - .offset:         32
        .size:           4
        .value_kind:     hidden_block_count_z
      - .offset:         36
        .size:           2
        .value_kind:     hidden_group_size_x
      - .offset:         38
        .size:           2
        .value_kind:     hidden_group_size_y
      - .offset:         40
        .size:           2
        .value_kind:     hidden_group_size_z
      - .offset:         42
        .size:           2
        .value_kind:     hidden_remainder_x
      - .offset:         44
        .size:           2
        .value_kind:     hidden_remainder_y
      - .offset:         46
        .size:           2
        .value_kind:     hidden_remainder_z
      - .offset:         64
        .size:           8
        .value_kind:     hidden_global_offset_x
      - .offset:         72
        .size:           8
        .value_kind:     hidden_global_offset_y
      - .offset:         80
        .size:           8
        .value_kind:     hidden_global_offset_z
      - .offset:         88
        .size:           2
        .value_kind:     hidden_grid_dims
    .group_segment_fixed_size: 0
    .kernarg_segment_align: 8
    .kernarg_segment_size: 280
    .language:       OpenCL C
    .language_version:
      - 2
      - 0
    .max_flat_workgroup_size: 32
    .name:           _Z33head_segmented_warp_reduce_kernelI12hip_bfloat16hLj32ELj8EENSt9enable_ifIXsr10test_utilsE35device_test_enabled_for_warp_size_vIXT2_EEEvE4typeEPT_PT0_S5_
    .private_segment_fixed_size: 0
    .sgpr_count:     18
    .sgpr_spill_count: 0
    .symbol:         _Z33head_segmented_warp_reduce_kernelI12hip_bfloat16hLj32ELj8EENSt9enable_ifIXsr10test_utilsE35device_test_enabled_for_warp_size_vIXT2_EEEvE4typeEPT_PT0_S5_.kd
    .uniform_work_group_size: 1
    .uses_dynamic_stack: false
    .vgpr_count:     9
    .vgpr_spill_count: 0
    .wavefront_size: 32
    .workgroup_processor_mode: 1
  - .args:
      - .address_space:  global
        .offset:         0
        .size:           8
        .value_kind:     global_buffer
      - .address_space:  global
        .offset:         8
        .size:           8
        .value_kind:     global_buffer
      - .address_space:  global
        .offset:         16
        .size:           8
        .value_kind:     global_buffer
      - .offset:         24
        .size:           4
        .value_kind:     hidden_block_count_x
      - .offset:         28
        .size:           4
        .value_kind:     hidden_block_count_y
      - .offset:         32
        .size:           4
        .value_kind:     hidden_block_count_z
      - .offset:         36
        .size:           2
        .value_kind:     hidden_group_size_x
      - .offset:         38
        .size:           2
        .value_kind:     hidden_group_size_y
      - .offset:         40
        .size:           2
        .value_kind:     hidden_group_size_z
      - .offset:         42
        .size:           2
        .value_kind:     hidden_remainder_x
      - .offset:         44
        .size:           2
        .value_kind:     hidden_remainder_y
      - .offset:         46
        .size:           2
        .value_kind:     hidden_remainder_z
      - .offset:         64
        .size:           8
        .value_kind:     hidden_global_offset_x
      - .offset:         72
        .size:           8
        .value_kind:     hidden_global_offset_y
      - .offset:         80
        .size:           8
        .value_kind:     hidden_global_offset_z
      - .offset:         88
        .size:           2
        .value_kind:     hidden_grid_dims
    .group_segment_fixed_size: 0
    .kernarg_segment_align: 8
    .kernarg_segment_size: 280
    .language:       OpenCL C
    .language_version:
      - 2
      - 0
    .max_flat_workgroup_size: 64
    .name:           _Z33head_segmented_warp_reduce_kernelI12hip_bfloat16hLj64ELj8EENSt9enable_ifIXsr10test_utilsE35device_test_enabled_for_warp_size_vIXT2_EEEvE4typeEPT_PT0_S5_
    .private_segment_fixed_size: 0
    .sgpr_count:     18
    .sgpr_spill_count: 0
    .symbol:         _Z33head_segmented_warp_reduce_kernelI12hip_bfloat16hLj64ELj8EENSt9enable_ifIXsr10test_utilsE35device_test_enabled_for_warp_size_vIXT2_EEEvE4typeEPT_PT0_S5_.kd
    .uniform_work_group_size: 1
    .uses_dynamic_stack: false
    .vgpr_count:     9
    .vgpr_spill_count: 0
    .wavefront_size: 32
    .workgroup_processor_mode: 1
  - .args:
      - .address_space:  global
        .offset:         0
        .size:           8
        .value_kind:     global_buffer
      - .address_space:  global
        .offset:         8
        .size:           8
        .value_kind:     global_buffer
      - .address_space:  global
        .offset:         16
        .size:           8
        .value_kind:     global_buffer
      - .offset:         24
        .size:           4
        .value_kind:     hidden_block_count_x
      - .offset:         28
        .size:           4
        .value_kind:     hidden_block_count_y
      - .offset:         32
        .size:           4
        .value_kind:     hidden_block_count_z
      - .offset:         36
        .size:           2
        .value_kind:     hidden_group_size_x
      - .offset:         38
        .size:           2
        .value_kind:     hidden_group_size_y
      - .offset:         40
        .size:           2
        .value_kind:     hidden_group_size_z
      - .offset:         42
        .size:           2
        .value_kind:     hidden_remainder_x
      - .offset:         44
        .size:           2
        .value_kind:     hidden_remainder_y
      - .offset:         46
        .size:           2
        .value_kind:     hidden_remainder_z
      - .offset:         64
        .size:           8
        .value_kind:     hidden_global_offset_x
      - .offset:         72
        .size:           8
        .value_kind:     hidden_global_offset_y
      - .offset:         80
        .size:           8
        .value_kind:     hidden_global_offset_z
      - .offset:         88
        .size:           2
        .value_kind:     hidden_grid_dims
    .group_segment_fixed_size: 0
    .kernarg_segment_align: 8
    .kernarg_segment_size: 280
    .language:       OpenCL C
    .language_version:
      - 2
      - 0
    .max_flat_workgroup_size: 32
    .name:           _Z33head_segmented_warp_reduce_kernelI12hip_bfloat16hLj32ELj4EENSt9enable_ifIXsr10test_utilsE35device_test_enabled_for_warp_size_vIXT2_EEEvE4typeEPT_PT0_S5_
    .private_segment_fixed_size: 0
    .sgpr_count:     18
    .sgpr_spill_count: 0
    .symbol:         _Z33head_segmented_warp_reduce_kernelI12hip_bfloat16hLj32ELj4EENSt9enable_ifIXsr10test_utilsE35device_test_enabled_for_warp_size_vIXT2_EEEvE4typeEPT_PT0_S5_.kd
    .uniform_work_group_size: 1
    .uses_dynamic_stack: false
    .vgpr_count:     9
    .vgpr_spill_count: 0
    .wavefront_size: 32
    .workgroup_processor_mode: 1
  - .args:
      - .address_space:  global
        .offset:         0
        .size:           8
        .value_kind:     global_buffer
      - .address_space:  global
        .offset:         8
        .size:           8
        .value_kind:     global_buffer
      - .address_space:  global
        .offset:         16
        .size:           8
        .value_kind:     global_buffer
      - .offset:         24
        .size:           4
        .value_kind:     hidden_block_count_x
      - .offset:         28
        .size:           4
        .value_kind:     hidden_block_count_y
      - .offset:         32
        .size:           4
        .value_kind:     hidden_block_count_z
      - .offset:         36
        .size:           2
        .value_kind:     hidden_group_size_x
      - .offset:         38
        .size:           2
        .value_kind:     hidden_group_size_y
      - .offset:         40
        .size:           2
        .value_kind:     hidden_group_size_z
      - .offset:         42
        .size:           2
        .value_kind:     hidden_remainder_x
      - .offset:         44
        .size:           2
        .value_kind:     hidden_remainder_y
      - .offset:         46
        .size:           2
        .value_kind:     hidden_remainder_z
      - .offset:         64
        .size:           8
        .value_kind:     hidden_global_offset_x
      - .offset:         72
        .size:           8
        .value_kind:     hidden_global_offset_y
      - .offset:         80
        .size:           8
        .value_kind:     hidden_global_offset_z
      - .offset:         88
        .size:           2
        .value_kind:     hidden_grid_dims
    .group_segment_fixed_size: 0
    .kernarg_segment_align: 8
    .kernarg_segment_size: 280
    .language:       OpenCL C
    .language_version:
      - 2
      - 0
    .max_flat_workgroup_size: 64
    .name:           _Z33head_segmented_warp_reduce_kernelI12hip_bfloat16hLj64ELj4EENSt9enable_ifIXsr10test_utilsE35device_test_enabled_for_warp_size_vIXT2_EEEvE4typeEPT_PT0_S5_
    .private_segment_fixed_size: 0
    .sgpr_count:     18
    .sgpr_spill_count: 0
    .symbol:         _Z33head_segmented_warp_reduce_kernelI12hip_bfloat16hLj64ELj4EENSt9enable_ifIXsr10test_utilsE35device_test_enabled_for_warp_size_vIXT2_EEEvE4typeEPT_PT0_S5_.kd
    .uniform_work_group_size: 1
    .uses_dynamic_stack: false
    .vgpr_count:     9
    .vgpr_spill_count: 0
    .wavefront_size: 32
    .workgroup_processor_mode: 1
  - .args:
      - .address_space:  global
        .offset:         0
        .size:           8
        .value_kind:     global_buffer
      - .address_space:  global
        .offset:         8
        .size:           8
        .value_kind:     global_buffer
      - .address_space:  global
        .offset:         16
        .size:           8
        .value_kind:     global_buffer
      - .offset:         24
        .size:           4
        .value_kind:     hidden_block_count_x
      - .offset:         28
        .size:           4
        .value_kind:     hidden_block_count_y
      - .offset:         32
        .size:           4
        .value_kind:     hidden_block_count_z
      - .offset:         36
        .size:           2
        .value_kind:     hidden_group_size_x
      - .offset:         38
        .size:           2
        .value_kind:     hidden_group_size_y
      - .offset:         40
        .size:           2
        .value_kind:     hidden_group_size_z
      - .offset:         42
        .size:           2
        .value_kind:     hidden_remainder_x
      - .offset:         44
        .size:           2
        .value_kind:     hidden_remainder_y
      - .offset:         46
        .size:           2
        .value_kind:     hidden_remainder_z
      - .offset:         64
        .size:           8
        .value_kind:     hidden_global_offset_x
      - .offset:         72
        .size:           8
        .value_kind:     hidden_global_offset_y
      - .offset:         80
        .size:           8
        .value_kind:     hidden_global_offset_z
      - .offset:         88
        .size:           2
        .value_kind:     hidden_grid_dims
    .group_segment_fixed_size: 0
    .kernarg_segment_align: 8
    .kernarg_segment_size: 280
    .language:       OpenCL C
    .language_version:
      - 2
      - 0
    .max_flat_workgroup_size: 32
    .name:           _Z33head_segmented_warp_reduce_kernelI12hip_bfloat16hLj32ELj2EENSt9enable_ifIXsr10test_utilsE35device_test_enabled_for_warp_size_vIXT2_EEEvE4typeEPT_PT0_S5_
    .private_segment_fixed_size: 0
    .sgpr_count:     18
    .sgpr_spill_count: 0
    .symbol:         _Z33head_segmented_warp_reduce_kernelI12hip_bfloat16hLj32ELj2EENSt9enable_ifIXsr10test_utilsE35device_test_enabled_for_warp_size_vIXT2_EEEvE4typeEPT_PT0_S5_.kd
    .uniform_work_group_size: 1
    .uses_dynamic_stack: false
    .vgpr_count:     8
    .vgpr_spill_count: 0
    .wavefront_size: 32
    .workgroup_processor_mode: 1
  - .args:
      - .address_space:  global
        .offset:         0
        .size:           8
        .value_kind:     global_buffer
      - .address_space:  global
        .offset:         8
        .size:           8
        .value_kind:     global_buffer
      - .address_space:  global
        .offset:         16
        .size:           8
        .value_kind:     global_buffer
      - .offset:         24
        .size:           4
        .value_kind:     hidden_block_count_x
      - .offset:         28
        .size:           4
        .value_kind:     hidden_block_count_y
      - .offset:         32
        .size:           4
        .value_kind:     hidden_block_count_z
      - .offset:         36
        .size:           2
        .value_kind:     hidden_group_size_x
      - .offset:         38
        .size:           2
        .value_kind:     hidden_group_size_y
      - .offset:         40
        .size:           2
        .value_kind:     hidden_group_size_z
      - .offset:         42
        .size:           2
        .value_kind:     hidden_remainder_x
      - .offset:         44
        .size:           2
        .value_kind:     hidden_remainder_y
      - .offset:         46
        .size:           2
        .value_kind:     hidden_remainder_z
      - .offset:         64
        .size:           8
        .value_kind:     hidden_global_offset_x
      - .offset:         72
        .size:           8
        .value_kind:     hidden_global_offset_y
      - .offset:         80
        .size:           8
        .value_kind:     hidden_global_offset_z
      - .offset:         88
        .size:           2
        .value_kind:     hidden_grid_dims
    .group_segment_fixed_size: 0
    .kernarg_segment_align: 8
    .kernarg_segment_size: 280
    .language:       OpenCL C
    .language_version:
      - 2
      - 0
    .max_flat_workgroup_size: 64
    .name:           _Z33head_segmented_warp_reduce_kernelI12hip_bfloat16hLj64ELj2EENSt9enable_ifIXsr10test_utilsE35device_test_enabled_for_warp_size_vIXT2_EEEvE4typeEPT_PT0_S5_
    .private_segment_fixed_size: 0
    .sgpr_count:     18
    .sgpr_spill_count: 0
    .symbol:         _Z33head_segmented_warp_reduce_kernelI12hip_bfloat16hLj64ELj2EENSt9enable_ifIXsr10test_utilsE35device_test_enabled_for_warp_size_vIXT2_EEEvE4typeEPT_PT0_S5_.kd
    .uniform_work_group_size: 1
    .uses_dynamic_stack: false
    .vgpr_count:     8
    .vgpr_spill_count: 0
    .wavefront_size: 32
    .workgroup_processor_mode: 1
  - .args:
      - .address_space:  global
        .offset:         0
        .size:           8
        .value_kind:     global_buffer
      - .address_space:  global
        .offset:         8
        .size:           8
        .value_kind:     global_buffer
      - .address_space:  global
        .offset:         16
        .size:           8
        .value_kind:     global_buffer
      - .offset:         24
        .size:           4
        .value_kind:     hidden_block_count_x
      - .offset:         28
        .size:           4
        .value_kind:     hidden_block_count_y
      - .offset:         32
        .size:           4
        .value_kind:     hidden_block_count_z
      - .offset:         36
        .size:           2
        .value_kind:     hidden_group_size_x
      - .offset:         38
        .size:           2
        .value_kind:     hidden_group_size_y
      - .offset:         40
        .size:           2
        .value_kind:     hidden_group_size_z
      - .offset:         42
        .size:           2
        .value_kind:     hidden_remainder_x
      - .offset:         44
        .size:           2
        .value_kind:     hidden_remainder_y
      - .offset:         46
        .size:           2
        .value_kind:     hidden_remainder_z
      - .offset:         64
        .size:           8
        .value_kind:     hidden_global_offset_x
      - .offset:         72
        .size:           8
        .value_kind:     hidden_global_offset_y
      - .offset:         80
        .size:           8
        .value_kind:     hidden_global_offset_z
      - .offset:         88
        .size:           2
        .value_kind:     hidden_grid_dims
    .group_segment_fixed_size: 0
    .kernarg_segment_align: 8
    .kernarg_segment_size: 280
    .language:       OpenCL C
    .language_version:
      - 2
      - 0
    .max_flat_workgroup_size: 32
    .name:           _Z33head_segmented_warp_reduce_kernelI12hip_bfloat16hLj32ELj1EENSt9enable_ifIXsr10test_utilsE35device_test_enabled_for_warp_size_vIXT2_EEEvE4typeEPT_PT0_S5_
    .private_segment_fixed_size: 0
    .sgpr_count:     18
    .sgpr_spill_count: 0
    .symbol:         _Z33head_segmented_warp_reduce_kernelI12hip_bfloat16hLj32ELj1EENSt9enable_ifIXsr10test_utilsE35device_test_enabled_for_warp_size_vIXT2_EEEvE4typeEPT_PT0_S5_.kd
    .uniform_work_group_size: 1
    .uses_dynamic_stack: false
    .vgpr_count:     4
    .vgpr_spill_count: 0
    .wavefront_size: 32
    .workgroup_processor_mode: 1
  - .args:
      - .address_space:  global
        .offset:         0
        .size:           8
        .value_kind:     global_buffer
      - .address_space:  global
        .offset:         8
        .size:           8
        .value_kind:     global_buffer
      - .address_space:  global
        .offset:         16
        .size:           8
        .value_kind:     global_buffer
      - .offset:         24
        .size:           4
        .value_kind:     hidden_block_count_x
      - .offset:         28
        .size:           4
        .value_kind:     hidden_block_count_y
      - .offset:         32
        .size:           4
        .value_kind:     hidden_block_count_z
      - .offset:         36
        .size:           2
        .value_kind:     hidden_group_size_x
      - .offset:         38
        .size:           2
        .value_kind:     hidden_group_size_y
      - .offset:         40
        .size:           2
        .value_kind:     hidden_group_size_z
      - .offset:         42
        .size:           2
        .value_kind:     hidden_remainder_x
      - .offset:         44
        .size:           2
        .value_kind:     hidden_remainder_y
      - .offset:         46
        .size:           2
        .value_kind:     hidden_remainder_z
      - .offset:         64
        .size:           8
        .value_kind:     hidden_global_offset_x
      - .offset:         72
        .size:           8
        .value_kind:     hidden_global_offset_y
      - .offset:         80
        .size:           8
        .value_kind:     hidden_global_offset_z
      - .offset:         88
        .size:           2
        .value_kind:     hidden_grid_dims
    .group_segment_fixed_size: 0
    .kernarg_segment_align: 8
    .kernarg_segment_size: 280
    .language:       OpenCL C
    .language_version:
      - 2
      - 0
    .max_flat_workgroup_size: 64
    .name:           _Z33head_segmented_warp_reduce_kernelI12hip_bfloat16hLj64ELj1EENSt9enable_ifIXsr10test_utilsE35device_test_enabled_for_warp_size_vIXT2_EEEvE4typeEPT_PT0_S5_
    .private_segment_fixed_size: 0
    .sgpr_count:     18
    .sgpr_spill_count: 0
    .symbol:         _Z33head_segmented_warp_reduce_kernelI12hip_bfloat16hLj64ELj1EENSt9enable_ifIXsr10test_utilsE35device_test_enabled_for_warp_size_vIXT2_EEEvE4typeEPT_PT0_S5_.kd
    .uniform_work_group_size: 1
    .uses_dynamic_stack: false
    .vgpr_count:     4
    .vgpr_spill_count: 0
    .wavefront_size: 32
    .workgroup_processor_mode: 1
  - .args:
      - .address_space:  global
        .offset:         0
        .size:           8
        .value_kind:     global_buffer
      - .address_space:  global
        .offset:         8
        .size:           8
        .value_kind:     global_buffer
      - .address_space:  global
        .offset:         16
        .size:           8
        .value_kind:     global_buffer
    .group_segment_fixed_size: 0
    .kernarg_segment_align: 8
    .kernarg_segment_size: 24
    .language:       OpenCL C
    .language_version:
      - 2
      - 0
    .max_flat_workgroup_size: 256
    .name:           _Z33head_segmented_warp_reduce_kernelI6__halfhLj256ELj64EENSt9enable_ifIXntsr10test_utilsE35device_test_enabled_for_warp_size_vIXT2_EEEvE4typeEPT_PT0_S5_
    .private_segment_fixed_size: 0
    .sgpr_count:     0
    .sgpr_spill_count: 0
    .symbol:         _Z33head_segmented_warp_reduce_kernelI6__halfhLj256ELj64EENSt9enable_ifIXntsr10test_utilsE35device_test_enabled_for_warp_size_vIXT2_EEEvE4typeEPT_PT0_S5_.kd
    .uniform_work_group_size: 1
    .uses_dynamic_stack: false
    .vgpr_count:     0
    .vgpr_spill_count: 0
    .wavefront_size: 32
    .workgroup_processor_mode: 1
  - .args:
      - .address_space:  global
        .offset:         0
        .size:           8
        .value_kind:     global_buffer
      - .address_space:  global
        .offset:         8
        .size:           8
        .value_kind:     global_buffer
      - .address_space:  global
        .offset:         16
        .size:           8
        .value_kind:     global_buffer
      - .offset:         24
        .size:           4
        .value_kind:     hidden_block_count_x
      - .offset:         28
        .size:           4
        .value_kind:     hidden_block_count_y
      - .offset:         32
        .size:           4
        .value_kind:     hidden_block_count_z
      - .offset:         36
        .size:           2
        .value_kind:     hidden_group_size_x
      - .offset:         38
        .size:           2
        .value_kind:     hidden_group_size_y
      - .offset:         40
        .size:           2
        .value_kind:     hidden_group_size_z
      - .offset:         42
        .size:           2
        .value_kind:     hidden_remainder_x
      - .offset:         44
        .size:           2
        .value_kind:     hidden_remainder_y
      - .offset:         46
        .size:           2
        .value_kind:     hidden_remainder_z
      - .offset:         64
        .size:           8
        .value_kind:     hidden_global_offset_x
      - .offset:         72
        .size:           8
        .value_kind:     hidden_global_offset_y
      - .offset:         80
        .size:           8
        .value_kind:     hidden_global_offset_z
      - .offset:         88
        .size:           2
        .value_kind:     hidden_grid_dims
    .group_segment_fixed_size: 0
    .kernarg_segment_align: 8
    .kernarg_segment_size: 280
    .language:       OpenCL C
    .language_version:
      - 2
      - 0
    .max_flat_workgroup_size: 128
    .name:           _Z33head_segmented_warp_reduce_kernelI6__halfhLj128ELj32EENSt9enable_ifIXsr10test_utilsE35device_test_enabled_for_warp_size_vIXT2_EEEvE4typeEPT_PT0_S5_
    .private_segment_fixed_size: 0
    .sgpr_count:     18
    .sgpr_spill_count: 0
    .symbol:         _Z33head_segmented_warp_reduce_kernelI6__halfhLj128ELj32EENSt9enable_ifIXsr10test_utilsE35device_test_enabled_for_warp_size_vIXT2_EEEvE4typeEPT_PT0_S5_.kd
    .uniform_work_group_size: 1
    .uses_dynamic_stack: false
    .vgpr_count:     14
    .vgpr_spill_count: 0
    .wavefront_size: 32
    .workgroup_processor_mode: 1
  - .args:
      - .address_space:  global
        .offset:         0
        .size:           8
        .value_kind:     global_buffer
      - .address_space:  global
        .offset:         8
        .size:           8
        .value_kind:     global_buffer
      - .address_space:  global
        .offset:         16
        .size:           8
        .value_kind:     global_buffer
      - .offset:         24
        .size:           4
        .value_kind:     hidden_block_count_x
      - .offset:         28
        .size:           4
        .value_kind:     hidden_block_count_y
      - .offset:         32
        .size:           4
        .value_kind:     hidden_block_count_z
      - .offset:         36
        .size:           2
        .value_kind:     hidden_group_size_x
      - .offset:         38
        .size:           2
        .value_kind:     hidden_group_size_y
      - .offset:         40
        .size:           2
        .value_kind:     hidden_group_size_z
      - .offset:         42
        .size:           2
        .value_kind:     hidden_remainder_x
      - .offset:         44
        .size:           2
        .value_kind:     hidden_remainder_y
      - .offset:         46
        .size:           2
        .value_kind:     hidden_remainder_z
      - .offset:         64
        .size:           8
        .value_kind:     hidden_global_offset_x
      - .offset:         72
        .size:           8
        .value_kind:     hidden_global_offset_y
      - .offset:         80
        .size:           8
        .value_kind:     hidden_global_offset_z
      - .offset:         88
        .size:           2
        .value_kind:     hidden_grid_dims
    .group_segment_fixed_size: 0
    .kernarg_segment_align: 8
    .kernarg_segment_size: 280
    .language:       OpenCL C
    .language_version:
      - 2
      - 0
    .max_flat_workgroup_size: 64
    .name:           _Z33head_segmented_warp_reduce_kernelI6__halfhLj64ELj16EENSt9enable_ifIXsr10test_utilsE35device_test_enabled_for_warp_size_vIXT2_EEEvE4typeEPT_PT0_S5_
    .private_segment_fixed_size: 0
    .sgpr_count:     18
    .sgpr_spill_count: 0
    .symbol:         _Z33head_segmented_warp_reduce_kernelI6__halfhLj64ELj16EENSt9enable_ifIXsr10test_utilsE35device_test_enabled_for_warp_size_vIXT2_EEEvE4typeEPT_PT0_S5_.kd
    .uniform_work_group_size: 1
    .uses_dynamic_stack: false
    .vgpr_count:     14
    .vgpr_spill_count: 0
    .wavefront_size: 32
    .workgroup_processor_mode: 1
  - .args:
      - .address_space:  global
        .offset:         0
        .size:           8
        .value_kind:     global_buffer
      - .address_space:  global
        .offset:         8
        .size:           8
        .value_kind:     global_buffer
      - .address_space:  global
        .offset:         16
        .size:           8
        .value_kind:     global_buffer
      - .offset:         24
        .size:           4
        .value_kind:     hidden_block_count_x
      - .offset:         28
        .size:           4
        .value_kind:     hidden_block_count_y
      - .offset:         32
        .size:           4
        .value_kind:     hidden_block_count_z
      - .offset:         36
        .size:           2
        .value_kind:     hidden_group_size_x
      - .offset:         38
        .size:           2
        .value_kind:     hidden_group_size_y
      - .offset:         40
        .size:           2
        .value_kind:     hidden_group_size_z
      - .offset:         42
        .size:           2
        .value_kind:     hidden_remainder_x
      - .offset:         44
        .size:           2
        .value_kind:     hidden_remainder_y
      - .offset:         46
        .size:           2
        .value_kind:     hidden_remainder_z
      - .offset:         64
        .size:           8
        .value_kind:     hidden_global_offset_x
      - .offset:         72
        .size:           8
        .value_kind:     hidden_global_offset_y
      - .offset:         80
        .size:           8
        .value_kind:     hidden_global_offset_z
      - .offset:         88
        .size:           2
        .value_kind:     hidden_grid_dims
    .group_segment_fixed_size: 0
    .kernarg_segment_align: 8
    .kernarg_segment_size: 280
    .language:       OpenCL C
    .language_version:
      - 2
      - 0
    .max_flat_workgroup_size: 32
    .name:           _Z33head_segmented_warp_reduce_kernelI6__halfhLj32ELj8EENSt9enable_ifIXsr10test_utilsE35device_test_enabled_for_warp_size_vIXT2_EEEvE4typeEPT_PT0_S5_
    .private_segment_fixed_size: 0
    .sgpr_count:     18
    .sgpr_spill_count: 0
    .symbol:         _Z33head_segmented_warp_reduce_kernelI6__halfhLj32ELj8EENSt9enable_ifIXsr10test_utilsE35device_test_enabled_for_warp_size_vIXT2_EEEvE4typeEPT_PT0_S5_.kd
    .uniform_work_group_size: 1
    .uses_dynamic_stack: false
    .vgpr_count:     13
    .vgpr_spill_count: 0
    .wavefront_size: 32
    .workgroup_processor_mode: 1
  - .args:
      - .address_space:  global
        .offset:         0
        .size:           8
        .value_kind:     global_buffer
      - .address_space:  global
        .offset:         8
        .size:           8
        .value_kind:     global_buffer
      - .address_space:  global
        .offset:         16
        .size:           8
        .value_kind:     global_buffer
      - .offset:         24
        .size:           4
        .value_kind:     hidden_block_count_x
      - .offset:         28
        .size:           4
        .value_kind:     hidden_block_count_y
      - .offset:         32
        .size:           4
        .value_kind:     hidden_block_count_z
      - .offset:         36
        .size:           2
        .value_kind:     hidden_group_size_x
      - .offset:         38
        .size:           2
        .value_kind:     hidden_group_size_y
      - .offset:         40
        .size:           2
        .value_kind:     hidden_group_size_z
      - .offset:         42
        .size:           2
        .value_kind:     hidden_remainder_x
      - .offset:         44
        .size:           2
        .value_kind:     hidden_remainder_y
      - .offset:         46
        .size:           2
        .value_kind:     hidden_remainder_z
      - .offset:         64
        .size:           8
        .value_kind:     hidden_global_offset_x
      - .offset:         72
        .size:           8
        .value_kind:     hidden_global_offset_y
      - .offset:         80
        .size:           8
        .value_kind:     hidden_global_offset_z
      - .offset:         88
        .size:           2
        .value_kind:     hidden_grid_dims
    .group_segment_fixed_size: 0
    .kernarg_segment_align: 8
    .kernarg_segment_size: 280
    .language:       OpenCL C
    .language_version:
      - 2
      - 0
    .max_flat_workgroup_size: 64
    .name:           _Z33head_segmented_warp_reduce_kernelI6__halfhLj64ELj8EENSt9enable_ifIXsr10test_utilsE35device_test_enabled_for_warp_size_vIXT2_EEEvE4typeEPT_PT0_S5_
    .private_segment_fixed_size: 0
    .sgpr_count:     18
    .sgpr_spill_count: 0
    .symbol:         _Z33head_segmented_warp_reduce_kernelI6__halfhLj64ELj8EENSt9enable_ifIXsr10test_utilsE35device_test_enabled_for_warp_size_vIXT2_EEEvE4typeEPT_PT0_S5_.kd
    .uniform_work_group_size: 1
    .uses_dynamic_stack: false
    .vgpr_count:     13
    .vgpr_spill_count: 0
    .wavefront_size: 32
    .workgroup_processor_mode: 1
  - .args:
      - .address_space:  global
        .offset:         0
        .size:           8
        .value_kind:     global_buffer
      - .address_space:  global
        .offset:         8
        .size:           8
        .value_kind:     global_buffer
      - .address_space:  global
        .offset:         16
        .size:           8
        .value_kind:     global_buffer
      - .offset:         24
        .size:           4
        .value_kind:     hidden_block_count_x
      - .offset:         28
        .size:           4
        .value_kind:     hidden_block_count_y
      - .offset:         32
        .size:           4
        .value_kind:     hidden_block_count_z
      - .offset:         36
        .size:           2
        .value_kind:     hidden_group_size_x
      - .offset:         38
        .size:           2
        .value_kind:     hidden_group_size_y
      - .offset:         40
        .size:           2
        .value_kind:     hidden_group_size_z
      - .offset:         42
        .size:           2
        .value_kind:     hidden_remainder_x
      - .offset:         44
        .size:           2
        .value_kind:     hidden_remainder_y
      - .offset:         46
        .size:           2
        .value_kind:     hidden_remainder_z
      - .offset:         64
        .size:           8
        .value_kind:     hidden_global_offset_x
      - .offset:         72
        .size:           8
        .value_kind:     hidden_global_offset_y
      - .offset:         80
        .size:           8
        .value_kind:     hidden_global_offset_z
      - .offset:         88
        .size:           2
        .value_kind:     hidden_grid_dims
    .group_segment_fixed_size: 0
    .kernarg_segment_align: 8
    .kernarg_segment_size: 280
    .language:       OpenCL C
    .language_version:
      - 2
      - 0
    .max_flat_workgroup_size: 32
    .name:           _Z33head_segmented_warp_reduce_kernelI6__halfhLj32ELj4EENSt9enable_ifIXsr10test_utilsE35device_test_enabled_for_warp_size_vIXT2_EEEvE4typeEPT_PT0_S5_
    .private_segment_fixed_size: 0
    .sgpr_count:     18
    .sgpr_spill_count: 0
    .symbol:         _Z33head_segmented_warp_reduce_kernelI6__halfhLj32ELj4EENSt9enable_ifIXsr10test_utilsE35device_test_enabled_for_warp_size_vIXT2_EEEvE4typeEPT_PT0_S5_.kd
    .uniform_work_group_size: 1
    .uses_dynamic_stack: false
    .vgpr_count:     10
    .vgpr_spill_count: 0
    .wavefront_size: 32
    .workgroup_processor_mode: 1
  - .args:
      - .address_space:  global
        .offset:         0
        .size:           8
        .value_kind:     global_buffer
      - .address_space:  global
        .offset:         8
        .size:           8
        .value_kind:     global_buffer
      - .address_space:  global
        .offset:         16
        .size:           8
        .value_kind:     global_buffer
      - .offset:         24
        .size:           4
        .value_kind:     hidden_block_count_x
      - .offset:         28
        .size:           4
        .value_kind:     hidden_block_count_y
      - .offset:         32
        .size:           4
        .value_kind:     hidden_block_count_z
      - .offset:         36
        .size:           2
        .value_kind:     hidden_group_size_x
      - .offset:         38
        .size:           2
        .value_kind:     hidden_group_size_y
      - .offset:         40
        .size:           2
        .value_kind:     hidden_group_size_z
      - .offset:         42
        .size:           2
        .value_kind:     hidden_remainder_x
      - .offset:         44
        .size:           2
        .value_kind:     hidden_remainder_y
      - .offset:         46
        .size:           2
        .value_kind:     hidden_remainder_z
      - .offset:         64
        .size:           8
        .value_kind:     hidden_global_offset_x
      - .offset:         72
        .size:           8
        .value_kind:     hidden_global_offset_y
      - .offset:         80
        .size:           8
        .value_kind:     hidden_global_offset_z
      - .offset:         88
        .size:           2
        .value_kind:     hidden_grid_dims
    .group_segment_fixed_size: 0
    .kernarg_segment_align: 8
    .kernarg_segment_size: 280
    .language:       OpenCL C
    .language_version:
      - 2
      - 0
    .max_flat_workgroup_size: 64
    .name:           _Z33head_segmented_warp_reduce_kernelI6__halfhLj64ELj4EENSt9enable_ifIXsr10test_utilsE35device_test_enabled_for_warp_size_vIXT2_EEEvE4typeEPT_PT0_S5_
    .private_segment_fixed_size: 0
    .sgpr_count:     18
    .sgpr_spill_count: 0
    .symbol:         _Z33head_segmented_warp_reduce_kernelI6__halfhLj64ELj4EENSt9enable_ifIXsr10test_utilsE35device_test_enabled_for_warp_size_vIXT2_EEEvE4typeEPT_PT0_S5_.kd
    .uniform_work_group_size: 1
    .uses_dynamic_stack: false
    .vgpr_count:     10
    .vgpr_spill_count: 0
    .wavefront_size: 32
    .workgroup_processor_mode: 1
  - .args:
      - .address_space:  global
        .offset:         0
        .size:           8
        .value_kind:     global_buffer
      - .address_space:  global
        .offset:         8
        .size:           8
        .value_kind:     global_buffer
      - .address_space:  global
        .offset:         16
        .size:           8
        .value_kind:     global_buffer
      - .offset:         24
        .size:           4
        .value_kind:     hidden_block_count_x
      - .offset:         28
        .size:           4
        .value_kind:     hidden_block_count_y
      - .offset:         32
        .size:           4
        .value_kind:     hidden_block_count_z
      - .offset:         36
        .size:           2
        .value_kind:     hidden_group_size_x
      - .offset:         38
        .size:           2
        .value_kind:     hidden_group_size_y
      - .offset:         40
        .size:           2
        .value_kind:     hidden_group_size_z
      - .offset:         42
        .size:           2
        .value_kind:     hidden_remainder_x
      - .offset:         44
        .size:           2
        .value_kind:     hidden_remainder_y
      - .offset:         46
        .size:           2
        .value_kind:     hidden_remainder_z
      - .offset:         64
        .size:           8
        .value_kind:     hidden_global_offset_x
      - .offset:         72
        .size:           8
        .value_kind:     hidden_global_offset_y
      - .offset:         80
        .size:           8
        .value_kind:     hidden_global_offset_z
      - .offset:         88
        .size:           2
        .value_kind:     hidden_grid_dims
    .group_segment_fixed_size: 0
    .kernarg_segment_align: 8
    .kernarg_segment_size: 280
    .language:       OpenCL C
    .language_version:
      - 2
      - 0
    .max_flat_workgroup_size: 32
    .name:           _Z33head_segmented_warp_reduce_kernelI6__halfhLj32ELj2EENSt9enable_ifIXsr10test_utilsE35device_test_enabled_for_warp_size_vIXT2_EEEvE4typeEPT_PT0_S5_
    .private_segment_fixed_size: 0
    .sgpr_count:     18
    .sgpr_spill_count: 0
    .symbol:         _Z33head_segmented_warp_reduce_kernelI6__halfhLj32ELj2EENSt9enable_ifIXsr10test_utilsE35device_test_enabled_for_warp_size_vIXT2_EEEvE4typeEPT_PT0_S5_.kd
    .uniform_work_group_size: 1
    .uses_dynamic_stack: false
    .vgpr_count:     7
    .vgpr_spill_count: 0
    .wavefront_size: 32
    .workgroup_processor_mode: 1
  - .args:
      - .address_space:  global
        .offset:         0
        .size:           8
        .value_kind:     global_buffer
      - .address_space:  global
        .offset:         8
        .size:           8
        .value_kind:     global_buffer
      - .address_space:  global
        .offset:         16
        .size:           8
        .value_kind:     global_buffer
      - .offset:         24
        .size:           4
        .value_kind:     hidden_block_count_x
      - .offset:         28
        .size:           4
        .value_kind:     hidden_block_count_y
      - .offset:         32
        .size:           4
        .value_kind:     hidden_block_count_z
      - .offset:         36
        .size:           2
        .value_kind:     hidden_group_size_x
      - .offset:         38
        .size:           2
        .value_kind:     hidden_group_size_y
      - .offset:         40
        .size:           2
        .value_kind:     hidden_group_size_z
      - .offset:         42
        .size:           2
        .value_kind:     hidden_remainder_x
      - .offset:         44
        .size:           2
        .value_kind:     hidden_remainder_y
      - .offset:         46
        .size:           2
        .value_kind:     hidden_remainder_z
      - .offset:         64
        .size:           8
        .value_kind:     hidden_global_offset_x
      - .offset:         72
        .size:           8
        .value_kind:     hidden_global_offset_y
      - .offset:         80
        .size:           8
        .value_kind:     hidden_global_offset_z
      - .offset:         88
        .size:           2
        .value_kind:     hidden_grid_dims
    .group_segment_fixed_size: 0
    .kernarg_segment_align: 8
    .kernarg_segment_size: 280
    .language:       OpenCL C
    .language_version:
      - 2
      - 0
    .max_flat_workgroup_size: 64
    .name:           _Z33head_segmented_warp_reduce_kernelI6__halfhLj64ELj2EENSt9enable_ifIXsr10test_utilsE35device_test_enabled_for_warp_size_vIXT2_EEEvE4typeEPT_PT0_S5_
    .private_segment_fixed_size: 0
    .sgpr_count:     18
    .sgpr_spill_count: 0
    .symbol:         _Z33head_segmented_warp_reduce_kernelI6__halfhLj64ELj2EENSt9enable_ifIXsr10test_utilsE35device_test_enabled_for_warp_size_vIXT2_EEEvE4typeEPT_PT0_S5_.kd
    .uniform_work_group_size: 1
    .uses_dynamic_stack: false
    .vgpr_count:     7
    .vgpr_spill_count: 0
    .wavefront_size: 32
    .workgroup_processor_mode: 1
  - .args:
      - .address_space:  global
        .offset:         0
        .size:           8
        .value_kind:     global_buffer
      - .address_space:  global
        .offset:         8
        .size:           8
        .value_kind:     global_buffer
      - .address_space:  global
        .offset:         16
        .size:           8
        .value_kind:     global_buffer
      - .offset:         24
        .size:           4
        .value_kind:     hidden_block_count_x
      - .offset:         28
        .size:           4
        .value_kind:     hidden_block_count_y
      - .offset:         32
        .size:           4
        .value_kind:     hidden_block_count_z
      - .offset:         36
        .size:           2
        .value_kind:     hidden_group_size_x
      - .offset:         38
        .size:           2
        .value_kind:     hidden_group_size_y
      - .offset:         40
        .size:           2
        .value_kind:     hidden_group_size_z
      - .offset:         42
        .size:           2
        .value_kind:     hidden_remainder_x
      - .offset:         44
        .size:           2
        .value_kind:     hidden_remainder_y
      - .offset:         46
        .size:           2
        .value_kind:     hidden_remainder_z
      - .offset:         64
        .size:           8
        .value_kind:     hidden_global_offset_x
      - .offset:         72
        .size:           8
        .value_kind:     hidden_global_offset_y
      - .offset:         80
        .size:           8
        .value_kind:     hidden_global_offset_z
      - .offset:         88
        .size:           2
        .value_kind:     hidden_grid_dims
    .group_segment_fixed_size: 0
    .kernarg_segment_align: 8
    .kernarg_segment_size: 280
    .language:       OpenCL C
    .language_version:
      - 2
      - 0
    .max_flat_workgroup_size: 32
    .name:           _Z33head_segmented_warp_reduce_kernelI6__halfhLj32ELj1EENSt9enable_ifIXsr10test_utilsE35device_test_enabled_for_warp_size_vIXT2_EEEvE4typeEPT_PT0_S5_
    .private_segment_fixed_size: 0
    .sgpr_count:     18
    .sgpr_spill_count: 0
    .symbol:         _Z33head_segmented_warp_reduce_kernelI6__halfhLj32ELj1EENSt9enable_ifIXsr10test_utilsE35device_test_enabled_for_warp_size_vIXT2_EEEvE4typeEPT_PT0_S5_.kd
    .uniform_work_group_size: 1
    .uses_dynamic_stack: false
    .vgpr_count:     4
    .vgpr_spill_count: 0
    .wavefront_size: 32
    .workgroup_processor_mode: 1
  - .args:
      - .address_space:  global
        .offset:         0
        .size:           8
        .value_kind:     global_buffer
      - .address_space:  global
        .offset:         8
        .size:           8
        .value_kind:     global_buffer
      - .address_space:  global
        .offset:         16
        .size:           8
        .value_kind:     global_buffer
      - .offset:         24
        .size:           4
        .value_kind:     hidden_block_count_x
      - .offset:         28
        .size:           4
        .value_kind:     hidden_block_count_y
      - .offset:         32
        .size:           4
        .value_kind:     hidden_block_count_z
      - .offset:         36
        .size:           2
        .value_kind:     hidden_group_size_x
      - .offset:         38
        .size:           2
        .value_kind:     hidden_group_size_y
      - .offset:         40
        .size:           2
        .value_kind:     hidden_group_size_z
      - .offset:         42
        .size:           2
        .value_kind:     hidden_remainder_x
      - .offset:         44
        .size:           2
        .value_kind:     hidden_remainder_y
      - .offset:         46
        .size:           2
        .value_kind:     hidden_remainder_z
      - .offset:         64
        .size:           8
        .value_kind:     hidden_global_offset_x
      - .offset:         72
        .size:           8
        .value_kind:     hidden_global_offset_y
      - .offset:         80
        .size:           8
        .value_kind:     hidden_global_offset_z
      - .offset:         88
        .size:           2
        .value_kind:     hidden_grid_dims
    .group_segment_fixed_size: 0
    .kernarg_segment_align: 8
    .kernarg_segment_size: 280
    .language:       OpenCL C
    .language_version:
      - 2
      - 0
    .max_flat_workgroup_size: 64
    .name:           _Z33head_segmented_warp_reduce_kernelI6__halfhLj64ELj1EENSt9enable_ifIXsr10test_utilsE35device_test_enabled_for_warp_size_vIXT2_EEEvE4typeEPT_PT0_S5_
    .private_segment_fixed_size: 0
    .sgpr_count:     18
    .sgpr_spill_count: 0
    .symbol:         _Z33head_segmented_warp_reduce_kernelI6__halfhLj64ELj1EENSt9enable_ifIXsr10test_utilsE35device_test_enabled_for_warp_size_vIXT2_EEEvE4typeEPT_PT0_S5_.kd
    .uniform_work_group_size: 1
    .uses_dynamic_stack: false
    .vgpr_count:     4
    .vgpr_spill_count: 0
    .wavefront_size: 32
    .workgroup_processor_mode: 1
  - .args:
      - .address_space:  global
        .offset:         0
        .size:           8
        .value_kind:     global_buffer
      - .address_space:  global
        .offset:         8
        .size:           8
        .value_kind:     global_buffer
      - .address_space:  global
        .offset:         16
        .size:           8
        .value_kind:     global_buffer
    .group_segment_fixed_size: 0
    .kernarg_segment_align: 8
    .kernarg_segment_size: 24
    .language:       OpenCL C
    .language_version:
      - 2
      - 0
    .max_flat_workgroup_size: 256
    .name:           _Z33head_segmented_warp_reduce_kernelIfhLj256ELj64EENSt9enable_ifIXntsr10test_utilsE35device_test_enabled_for_warp_size_vIXT2_EEEvE4typeEPT_PT0_S4_
    .private_segment_fixed_size: 0
    .sgpr_count:     0
    .sgpr_spill_count: 0
    .symbol:         _Z33head_segmented_warp_reduce_kernelIfhLj256ELj64EENSt9enable_ifIXntsr10test_utilsE35device_test_enabled_for_warp_size_vIXT2_EEEvE4typeEPT_PT0_S4_.kd
    .uniform_work_group_size: 1
    .uses_dynamic_stack: false
    .vgpr_count:     0
    .vgpr_spill_count: 0
    .wavefront_size: 32
    .workgroup_processor_mode: 1
  - .args:
      - .address_space:  global
        .offset:         0
        .size:           8
        .value_kind:     global_buffer
      - .address_space:  global
        .offset:         8
        .size:           8
        .value_kind:     global_buffer
      - .address_space:  global
        .offset:         16
        .size:           8
        .value_kind:     global_buffer
      - .offset:         24
        .size:           4
        .value_kind:     hidden_block_count_x
      - .offset:         28
        .size:           4
        .value_kind:     hidden_block_count_y
      - .offset:         32
        .size:           4
        .value_kind:     hidden_block_count_z
      - .offset:         36
        .size:           2
        .value_kind:     hidden_group_size_x
      - .offset:         38
        .size:           2
        .value_kind:     hidden_group_size_y
      - .offset:         40
        .size:           2
        .value_kind:     hidden_group_size_z
      - .offset:         42
        .size:           2
        .value_kind:     hidden_remainder_x
      - .offset:         44
        .size:           2
        .value_kind:     hidden_remainder_y
      - .offset:         46
        .size:           2
        .value_kind:     hidden_remainder_z
      - .offset:         64
        .size:           8
        .value_kind:     hidden_global_offset_x
      - .offset:         72
        .size:           8
        .value_kind:     hidden_global_offset_y
      - .offset:         80
        .size:           8
        .value_kind:     hidden_global_offset_z
      - .offset:         88
        .size:           2
        .value_kind:     hidden_grid_dims
    .group_segment_fixed_size: 0
    .kernarg_segment_align: 8
    .kernarg_segment_size: 280
    .language:       OpenCL C
    .language_version:
      - 2
      - 0
    .max_flat_workgroup_size: 128
    .name:           _Z33head_segmented_warp_reduce_kernelIfhLj128ELj32EENSt9enable_ifIXsr10test_utilsE35device_test_enabled_for_warp_size_vIXT2_EEEvE4typeEPT_PT0_S4_
    .private_segment_fixed_size: 0
    .sgpr_count:     18
    .sgpr_spill_count: 0
    .symbol:         _Z33head_segmented_warp_reduce_kernelIfhLj128ELj32EENSt9enable_ifIXsr10test_utilsE35device_test_enabled_for_warp_size_vIXT2_EEEvE4typeEPT_PT0_S4_.kd
    .uniform_work_group_size: 1
    .uses_dynamic_stack: false
    .vgpr_count:     8
    .vgpr_spill_count: 0
    .wavefront_size: 32
    .workgroup_processor_mode: 1
  - .args:
      - .address_space:  global
        .offset:         0
        .size:           8
        .value_kind:     global_buffer
      - .address_space:  global
        .offset:         8
        .size:           8
        .value_kind:     global_buffer
      - .address_space:  global
        .offset:         16
        .size:           8
        .value_kind:     global_buffer
      - .offset:         24
        .size:           4
        .value_kind:     hidden_block_count_x
      - .offset:         28
        .size:           4
        .value_kind:     hidden_block_count_y
      - .offset:         32
        .size:           4
        .value_kind:     hidden_block_count_z
      - .offset:         36
        .size:           2
        .value_kind:     hidden_group_size_x
      - .offset:         38
        .size:           2
        .value_kind:     hidden_group_size_y
      - .offset:         40
        .size:           2
        .value_kind:     hidden_group_size_z
      - .offset:         42
        .size:           2
        .value_kind:     hidden_remainder_x
      - .offset:         44
        .size:           2
        .value_kind:     hidden_remainder_y
      - .offset:         46
        .size:           2
        .value_kind:     hidden_remainder_z
      - .offset:         64
        .size:           8
        .value_kind:     hidden_global_offset_x
      - .offset:         72
        .size:           8
        .value_kind:     hidden_global_offset_y
      - .offset:         80
        .size:           8
        .value_kind:     hidden_global_offset_z
      - .offset:         88
        .size:           2
        .value_kind:     hidden_grid_dims
    .group_segment_fixed_size: 0
    .kernarg_segment_align: 8
    .kernarg_segment_size: 280
    .language:       OpenCL C
    .language_version:
      - 2
      - 0
    .max_flat_workgroup_size: 64
    .name:           _Z33head_segmented_warp_reduce_kernelIfhLj64ELj16EENSt9enable_ifIXsr10test_utilsE35device_test_enabled_for_warp_size_vIXT2_EEEvE4typeEPT_PT0_S4_
    .private_segment_fixed_size: 0
    .sgpr_count:     18
    .sgpr_spill_count: 0
    .symbol:         _Z33head_segmented_warp_reduce_kernelIfhLj64ELj16EENSt9enable_ifIXsr10test_utilsE35device_test_enabled_for_warp_size_vIXT2_EEEvE4typeEPT_PT0_S4_.kd
    .uniform_work_group_size: 1
    .uses_dynamic_stack: false
    .vgpr_count:     10
    .vgpr_spill_count: 0
    .wavefront_size: 32
    .workgroup_processor_mode: 1
  - .args:
      - .address_space:  global
        .offset:         0
        .size:           8
        .value_kind:     global_buffer
      - .address_space:  global
        .offset:         8
        .size:           8
        .value_kind:     global_buffer
      - .address_space:  global
        .offset:         16
        .size:           8
        .value_kind:     global_buffer
      - .offset:         24
        .size:           4
        .value_kind:     hidden_block_count_x
      - .offset:         28
        .size:           4
        .value_kind:     hidden_block_count_y
      - .offset:         32
        .size:           4
        .value_kind:     hidden_block_count_z
      - .offset:         36
        .size:           2
        .value_kind:     hidden_group_size_x
      - .offset:         38
        .size:           2
        .value_kind:     hidden_group_size_y
      - .offset:         40
        .size:           2
        .value_kind:     hidden_group_size_z
      - .offset:         42
        .size:           2
        .value_kind:     hidden_remainder_x
      - .offset:         44
        .size:           2
        .value_kind:     hidden_remainder_y
      - .offset:         46
        .size:           2
        .value_kind:     hidden_remainder_z
      - .offset:         64
        .size:           8
        .value_kind:     hidden_global_offset_x
      - .offset:         72
        .size:           8
        .value_kind:     hidden_global_offset_y
      - .offset:         80
        .size:           8
        .value_kind:     hidden_global_offset_z
      - .offset:         88
        .size:           2
        .value_kind:     hidden_grid_dims
    .group_segment_fixed_size: 0
    .kernarg_segment_align: 8
    .kernarg_segment_size: 280
    .language:       OpenCL C
    .language_version:
      - 2
      - 0
    .max_flat_workgroup_size: 32
    .name:           _Z33head_segmented_warp_reduce_kernelIfhLj32ELj8EENSt9enable_ifIXsr10test_utilsE35device_test_enabled_for_warp_size_vIXT2_EEEvE4typeEPT_PT0_S4_
    .private_segment_fixed_size: 0
    .sgpr_count:     18
    .sgpr_spill_count: 0
    .symbol:         _Z33head_segmented_warp_reduce_kernelIfhLj32ELj8EENSt9enable_ifIXsr10test_utilsE35device_test_enabled_for_warp_size_vIXT2_EEEvE4typeEPT_PT0_S4_.kd
    .uniform_work_group_size: 1
    .uses_dynamic_stack: false
    .vgpr_count:     10
    .vgpr_spill_count: 0
    .wavefront_size: 32
    .workgroup_processor_mode: 1
  - .args:
      - .address_space:  global
        .offset:         0
        .size:           8
        .value_kind:     global_buffer
      - .address_space:  global
        .offset:         8
        .size:           8
        .value_kind:     global_buffer
      - .address_space:  global
        .offset:         16
        .size:           8
        .value_kind:     global_buffer
      - .offset:         24
        .size:           4
        .value_kind:     hidden_block_count_x
      - .offset:         28
        .size:           4
        .value_kind:     hidden_block_count_y
      - .offset:         32
        .size:           4
        .value_kind:     hidden_block_count_z
      - .offset:         36
        .size:           2
        .value_kind:     hidden_group_size_x
      - .offset:         38
        .size:           2
        .value_kind:     hidden_group_size_y
      - .offset:         40
        .size:           2
        .value_kind:     hidden_group_size_z
      - .offset:         42
        .size:           2
        .value_kind:     hidden_remainder_x
      - .offset:         44
        .size:           2
        .value_kind:     hidden_remainder_y
      - .offset:         46
        .size:           2
        .value_kind:     hidden_remainder_z
      - .offset:         64
        .size:           8
        .value_kind:     hidden_global_offset_x
      - .offset:         72
        .size:           8
        .value_kind:     hidden_global_offset_y
      - .offset:         80
        .size:           8
        .value_kind:     hidden_global_offset_z
      - .offset:         88
        .size:           2
        .value_kind:     hidden_grid_dims
    .group_segment_fixed_size: 0
    .kernarg_segment_align: 8
    .kernarg_segment_size: 280
    .language:       OpenCL C
    .language_version:
      - 2
      - 0
    .max_flat_workgroup_size: 64
    .name:           _Z33head_segmented_warp_reduce_kernelIfhLj64ELj8EENSt9enable_ifIXsr10test_utilsE35device_test_enabled_for_warp_size_vIXT2_EEEvE4typeEPT_PT0_S4_
    .private_segment_fixed_size: 0
    .sgpr_count:     18
    .sgpr_spill_count: 0
    .symbol:         _Z33head_segmented_warp_reduce_kernelIfhLj64ELj8EENSt9enable_ifIXsr10test_utilsE35device_test_enabled_for_warp_size_vIXT2_EEEvE4typeEPT_PT0_S4_.kd
    .uniform_work_group_size: 1
    .uses_dynamic_stack: false
    .vgpr_count:     10
    .vgpr_spill_count: 0
    .wavefront_size: 32
    .workgroup_processor_mode: 1
  - .args:
      - .address_space:  global
        .offset:         0
        .size:           8
        .value_kind:     global_buffer
      - .address_space:  global
        .offset:         8
        .size:           8
        .value_kind:     global_buffer
      - .address_space:  global
        .offset:         16
        .size:           8
        .value_kind:     global_buffer
      - .offset:         24
        .size:           4
        .value_kind:     hidden_block_count_x
      - .offset:         28
        .size:           4
        .value_kind:     hidden_block_count_y
      - .offset:         32
        .size:           4
        .value_kind:     hidden_block_count_z
      - .offset:         36
        .size:           2
        .value_kind:     hidden_group_size_x
      - .offset:         38
        .size:           2
        .value_kind:     hidden_group_size_y
      - .offset:         40
        .size:           2
        .value_kind:     hidden_group_size_z
      - .offset:         42
        .size:           2
        .value_kind:     hidden_remainder_x
      - .offset:         44
        .size:           2
        .value_kind:     hidden_remainder_y
      - .offset:         46
        .size:           2
        .value_kind:     hidden_remainder_z
      - .offset:         64
        .size:           8
        .value_kind:     hidden_global_offset_x
      - .offset:         72
        .size:           8
        .value_kind:     hidden_global_offset_y
      - .offset:         80
        .size:           8
        .value_kind:     hidden_global_offset_z
      - .offset:         88
        .size:           2
        .value_kind:     hidden_grid_dims
    .group_segment_fixed_size: 0
    .kernarg_segment_align: 8
    .kernarg_segment_size: 280
    .language:       OpenCL C
    .language_version:
      - 2
      - 0
    .max_flat_workgroup_size: 32
    .name:           _Z33head_segmented_warp_reduce_kernelIfhLj32ELj4EENSt9enable_ifIXsr10test_utilsE35device_test_enabled_for_warp_size_vIXT2_EEEvE4typeEPT_PT0_S4_
    .private_segment_fixed_size: 0
    .sgpr_count:     18
    .sgpr_spill_count: 0
    .symbol:         _Z33head_segmented_warp_reduce_kernelIfhLj32ELj4EENSt9enable_ifIXsr10test_utilsE35device_test_enabled_for_warp_size_vIXT2_EEEvE4typeEPT_PT0_S4_.kd
    .uniform_work_group_size: 1
    .uses_dynamic_stack: false
    .vgpr_count:     8
    .vgpr_spill_count: 0
    .wavefront_size: 32
    .workgroup_processor_mode: 1
  - .args:
      - .address_space:  global
        .offset:         0
        .size:           8
        .value_kind:     global_buffer
      - .address_space:  global
        .offset:         8
        .size:           8
        .value_kind:     global_buffer
      - .address_space:  global
        .offset:         16
        .size:           8
        .value_kind:     global_buffer
      - .offset:         24
        .size:           4
        .value_kind:     hidden_block_count_x
      - .offset:         28
        .size:           4
        .value_kind:     hidden_block_count_y
      - .offset:         32
        .size:           4
        .value_kind:     hidden_block_count_z
      - .offset:         36
        .size:           2
        .value_kind:     hidden_group_size_x
      - .offset:         38
        .size:           2
        .value_kind:     hidden_group_size_y
      - .offset:         40
        .size:           2
        .value_kind:     hidden_group_size_z
      - .offset:         42
        .size:           2
        .value_kind:     hidden_remainder_x
      - .offset:         44
        .size:           2
        .value_kind:     hidden_remainder_y
      - .offset:         46
        .size:           2
        .value_kind:     hidden_remainder_z
      - .offset:         64
        .size:           8
        .value_kind:     hidden_global_offset_x
      - .offset:         72
        .size:           8
        .value_kind:     hidden_global_offset_y
      - .offset:         80
        .size:           8
        .value_kind:     hidden_global_offset_z
      - .offset:         88
        .size:           2
        .value_kind:     hidden_grid_dims
    .group_segment_fixed_size: 0
    .kernarg_segment_align: 8
    .kernarg_segment_size: 280
    .language:       OpenCL C
    .language_version:
      - 2
      - 0
    .max_flat_workgroup_size: 64
    .name:           _Z33head_segmented_warp_reduce_kernelIfhLj64ELj4EENSt9enable_ifIXsr10test_utilsE35device_test_enabled_for_warp_size_vIXT2_EEEvE4typeEPT_PT0_S4_
    .private_segment_fixed_size: 0
    .sgpr_count:     18
    .sgpr_spill_count: 0
    .symbol:         _Z33head_segmented_warp_reduce_kernelIfhLj64ELj4EENSt9enable_ifIXsr10test_utilsE35device_test_enabled_for_warp_size_vIXT2_EEEvE4typeEPT_PT0_S4_.kd
    .uniform_work_group_size: 1
    .uses_dynamic_stack: false
    .vgpr_count:     8
    .vgpr_spill_count: 0
    .wavefront_size: 32
    .workgroup_processor_mode: 1
  - .args:
      - .address_space:  global
        .offset:         0
        .size:           8
        .value_kind:     global_buffer
      - .address_space:  global
        .offset:         8
        .size:           8
        .value_kind:     global_buffer
      - .address_space:  global
        .offset:         16
        .size:           8
        .value_kind:     global_buffer
      - .offset:         24
        .size:           4
        .value_kind:     hidden_block_count_x
      - .offset:         28
        .size:           4
        .value_kind:     hidden_block_count_y
      - .offset:         32
        .size:           4
        .value_kind:     hidden_block_count_z
      - .offset:         36
        .size:           2
        .value_kind:     hidden_group_size_x
      - .offset:         38
        .size:           2
        .value_kind:     hidden_group_size_y
      - .offset:         40
        .size:           2
        .value_kind:     hidden_group_size_z
      - .offset:         42
        .size:           2
        .value_kind:     hidden_remainder_x
      - .offset:         44
        .size:           2
        .value_kind:     hidden_remainder_y
      - .offset:         46
        .size:           2
        .value_kind:     hidden_remainder_z
      - .offset:         64
        .size:           8
        .value_kind:     hidden_global_offset_x
      - .offset:         72
        .size:           8
        .value_kind:     hidden_global_offset_y
      - .offset:         80
        .size:           8
        .value_kind:     hidden_global_offset_z
      - .offset:         88
        .size:           2
        .value_kind:     hidden_grid_dims
    .group_segment_fixed_size: 0
    .kernarg_segment_align: 8
    .kernarg_segment_size: 280
    .language:       OpenCL C
    .language_version:
      - 2
      - 0
    .max_flat_workgroup_size: 32
    .name:           _Z33head_segmented_warp_reduce_kernelIfhLj32ELj2EENSt9enable_ifIXsr10test_utilsE35device_test_enabled_for_warp_size_vIXT2_EEEvE4typeEPT_PT0_S4_
    .private_segment_fixed_size: 0
    .sgpr_count:     18
    .sgpr_spill_count: 0
    .symbol:         _Z33head_segmented_warp_reduce_kernelIfhLj32ELj2EENSt9enable_ifIXsr10test_utilsE35device_test_enabled_for_warp_size_vIXT2_EEEvE4typeEPT_PT0_S4_.kd
    .uniform_work_group_size: 1
    .uses_dynamic_stack: false
    .vgpr_count:     7
    .vgpr_spill_count: 0
    .wavefront_size: 32
    .workgroup_processor_mode: 1
  - .args:
      - .address_space:  global
        .offset:         0
        .size:           8
        .value_kind:     global_buffer
      - .address_space:  global
        .offset:         8
        .size:           8
        .value_kind:     global_buffer
      - .address_space:  global
        .offset:         16
        .size:           8
        .value_kind:     global_buffer
      - .offset:         24
        .size:           4
        .value_kind:     hidden_block_count_x
      - .offset:         28
        .size:           4
        .value_kind:     hidden_block_count_y
      - .offset:         32
        .size:           4
        .value_kind:     hidden_block_count_z
      - .offset:         36
        .size:           2
        .value_kind:     hidden_group_size_x
      - .offset:         38
        .size:           2
        .value_kind:     hidden_group_size_y
      - .offset:         40
        .size:           2
        .value_kind:     hidden_group_size_z
      - .offset:         42
        .size:           2
        .value_kind:     hidden_remainder_x
      - .offset:         44
        .size:           2
        .value_kind:     hidden_remainder_y
      - .offset:         46
        .size:           2
        .value_kind:     hidden_remainder_z
      - .offset:         64
        .size:           8
        .value_kind:     hidden_global_offset_x
      - .offset:         72
        .size:           8
        .value_kind:     hidden_global_offset_y
      - .offset:         80
        .size:           8
        .value_kind:     hidden_global_offset_z
      - .offset:         88
        .size:           2
        .value_kind:     hidden_grid_dims
    .group_segment_fixed_size: 0
    .kernarg_segment_align: 8
    .kernarg_segment_size: 280
    .language:       OpenCL C
    .language_version:
      - 2
      - 0
    .max_flat_workgroup_size: 64
    .name:           _Z33head_segmented_warp_reduce_kernelIfhLj64ELj2EENSt9enable_ifIXsr10test_utilsE35device_test_enabled_for_warp_size_vIXT2_EEEvE4typeEPT_PT0_S4_
    .private_segment_fixed_size: 0
    .sgpr_count:     18
    .sgpr_spill_count: 0
    .symbol:         _Z33head_segmented_warp_reduce_kernelIfhLj64ELj2EENSt9enable_ifIXsr10test_utilsE35device_test_enabled_for_warp_size_vIXT2_EEEvE4typeEPT_PT0_S4_.kd
    .uniform_work_group_size: 1
    .uses_dynamic_stack: false
    .vgpr_count:     7
    .vgpr_spill_count: 0
    .wavefront_size: 32
    .workgroup_processor_mode: 1
  - .args:
      - .address_space:  global
        .offset:         0
        .size:           8
        .value_kind:     global_buffer
      - .address_space:  global
        .offset:         8
        .size:           8
        .value_kind:     global_buffer
      - .address_space:  global
        .offset:         16
        .size:           8
        .value_kind:     global_buffer
      - .offset:         24
        .size:           4
        .value_kind:     hidden_block_count_x
      - .offset:         28
        .size:           4
        .value_kind:     hidden_block_count_y
      - .offset:         32
        .size:           4
        .value_kind:     hidden_block_count_z
      - .offset:         36
        .size:           2
        .value_kind:     hidden_group_size_x
      - .offset:         38
        .size:           2
        .value_kind:     hidden_group_size_y
      - .offset:         40
        .size:           2
        .value_kind:     hidden_group_size_z
      - .offset:         42
        .size:           2
        .value_kind:     hidden_remainder_x
      - .offset:         44
        .size:           2
        .value_kind:     hidden_remainder_y
      - .offset:         46
        .size:           2
        .value_kind:     hidden_remainder_z
      - .offset:         64
        .size:           8
        .value_kind:     hidden_global_offset_x
      - .offset:         72
        .size:           8
        .value_kind:     hidden_global_offset_y
      - .offset:         80
        .size:           8
        .value_kind:     hidden_global_offset_z
      - .offset:         88
        .size:           2
        .value_kind:     hidden_grid_dims
    .group_segment_fixed_size: 0
    .kernarg_segment_align: 8
    .kernarg_segment_size: 280
    .language:       OpenCL C
    .language_version:
      - 2
      - 0
    .max_flat_workgroup_size: 32
    .name:           _Z33head_segmented_warp_reduce_kernelIfhLj32ELj1EENSt9enable_ifIXsr10test_utilsE35device_test_enabled_for_warp_size_vIXT2_EEEvE4typeEPT_PT0_S4_
    .private_segment_fixed_size: 0
    .sgpr_count:     18
    .sgpr_spill_count: 0
    .symbol:         _Z33head_segmented_warp_reduce_kernelIfhLj32ELj1EENSt9enable_ifIXsr10test_utilsE35device_test_enabled_for_warp_size_vIXT2_EEEvE4typeEPT_PT0_S4_.kd
    .uniform_work_group_size: 1
    .uses_dynamic_stack: false
    .vgpr_count:     4
    .vgpr_spill_count: 0
    .wavefront_size: 32
    .workgroup_processor_mode: 1
  - .args:
      - .address_space:  global
        .offset:         0
        .size:           8
        .value_kind:     global_buffer
      - .address_space:  global
        .offset:         8
        .size:           8
        .value_kind:     global_buffer
      - .address_space:  global
        .offset:         16
        .size:           8
        .value_kind:     global_buffer
      - .offset:         24
        .size:           4
        .value_kind:     hidden_block_count_x
      - .offset:         28
        .size:           4
        .value_kind:     hidden_block_count_y
      - .offset:         32
        .size:           4
        .value_kind:     hidden_block_count_z
      - .offset:         36
        .size:           2
        .value_kind:     hidden_group_size_x
      - .offset:         38
        .size:           2
        .value_kind:     hidden_group_size_y
      - .offset:         40
        .size:           2
        .value_kind:     hidden_group_size_z
      - .offset:         42
        .size:           2
        .value_kind:     hidden_remainder_x
      - .offset:         44
        .size:           2
        .value_kind:     hidden_remainder_y
      - .offset:         46
        .size:           2
        .value_kind:     hidden_remainder_z
      - .offset:         64
        .size:           8
        .value_kind:     hidden_global_offset_x
      - .offset:         72
        .size:           8
        .value_kind:     hidden_global_offset_y
      - .offset:         80
        .size:           8
        .value_kind:     hidden_global_offset_z
      - .offset:         88
        .size:           2
        .value_kind:     hidden_grid_dims
    .group_segment_fixed_size: 0
    .kernarg_segment_align: 8
    .kernarg_segment_size: 280
    .language:       OpenCL C
    .language_version:
      - 2
      - 0
    .max_flat_workgroup_size: 64
    .name:           _Z33head_segmented_warp_reduce_kernelIfhLj64ELj1EENSt9enable_ifIXsr10test_utilsE35device_test_enabled_for_warp_size_vIXT2_EEEvE4typeEPT_PT0_S4_
    .private_segment_fixed_size: 0
    .sgpr_count:     18
    .sgpr_spill_count: 0
    .symbol:         _Z33head_segmented_warp_reduce_kernelIfhLj64ELj1EENSt9enable_ifIXsr10test_utilsE35device_test_enabled_for_warp_size_vIXT2_EEEvE4typeEPT_PT0_S4_.kd
    .uniform_work_group_size: 1
    .uses_dynamic_stack: false
    .vgpr_count:     4
    .vgpr_spill_count: 0
    .wavefront_size: 32
    .workgroup_processor_mode: 1
  - .args:
      - .address_space:  global
        .offset:         0
        .size:           8
        .value_kind:     global_buffer
      - .address_space:  global
        .offset:         8
        .size:           8
        .value_kind:     global_buffer
      - .address_space:  global
        .offset:         16
        .size:           8
        .value_kind:     global_buffer
    .group_segment_fixed_size: 0
    .kernarg_segment_align: 8
    .kernarg_segment_size: 24
    .language:       OpenCL C
    .language_version:
      - 2
      - 0
    .max_flat_workgroup_size: 256
    .name:           _Z33head_segmented_warp_reduce_kernelIihLj256ELj64EENSt9enable_ifIXntsr10test_utilsE35device_test_enabled_for_warp_size_vIXT2_EEEvE4typeEPT_PT0_S4_
    .private_segment_fixed_size: 0
    .sgpr_count:     0
    .sgpr_spill_count: 0
    .symbol:         _Z33head_segmented_warp_reduce_kernelIihLj256ELj64EENSt9enable_ifIXntsr10test_utilsE35device_test_enabled_for_warp_size_vIXT2_EEEvE4typeEPT_PT0_S4_.kd
    .uniform_work_group_size: 1
    .uses_dynamic_stack: false
    .vgpr_count:     0
    .vgpr_spill_count: 0
    .wavefront_size: 32
    .workgroup_processor_mode: 1
  - .args:
      - .address_space:  global
        .offset:         0
        .size:           8
        .value_kind:     global_buffer
      - .address_space:  global
        .offset:         8
        .size:           8
        .value_kind:     global_buffer
      - .address_space:  global
        .offset:         16
        .size:           8
        .value_kind:     global_buffer
      - .offset:         24
        .size:           4
        .value_kind:     hidden_block_count_x
      - .offset:         28
        .size:           4
        .value_kind:     hidden_block_count_y
      - .offset:         32
        .size:           4
        .value_kind:     hidden_block_count_z
      - .offset:         36
        .size:           2
        .value_kind:     hidden_group_size_x
      - .offset:         38
        .size:           2
        .value_kind:     hidden_group_size_y
      - .offset:         40
        .size:           2
        .value_kind:     hidden_group_size_z
      - .offset:         42
        .size:           2
        .value_kind:     hidden_remainder_x
      - .offset:         44
        .size:           2
        .value_kind:     hidden_remainder_y
      - .offset:         46
        .size:           2
        .value_kind:     hidden_remainder_z
      - .offset:         64
        .size:           8
        .value_kind:     hidden_global_offset_x
      - .offset:         72
        .size:           8
        .value_kind:     hidden_global_offset_y
      - .offset:         80
        .size:           8
        .value_kind:     hidden_global_offset_z
      - .offset:         88
        .size:           2
        .value_kind:     hidden_grid_dims
    .group_segment_fixed_size: 0
    .kernarg_segment_align: 8
    .kernarg_segment_size: 280
    .language:       OpenCL C
    .language_version:
      - 2
      - 0
    .max_flat_workgroup_size: 128
    .name:           _Z33head_segmented_warp_reduce_kernelIihLj128ELj32EENSt9enable_ifIXsr10test_utilsE35device_test_enabled_for_warp_size_vIXT2_EEEvE4typeEPT_PT0_S4_
    .private_segment_fixed_size: 0
    .sgpr_count:     18
    .sgpr_spill_count: 0
    .symbol:         _Z33head_segmented_warp_reduce_kernelIihLj128ELj32EENSt9enable_ifIXsr10test_utilsE35device_test_enabled_for_warp_size_vIXT2_EEEvE4typeEPT_PT0_S4_.kd
    .uniform_work_group_size: 1
    .uses_dynamic_stack: false
    .vgpr_count:     8
    .vgpr_spill_count: 0
    .wavefront_size: 32
    .workgroup_processor_mode: 1
  - .args:
      - .address_space:  global
        .offset:         0
        .size:           8
        .value_kind:     global_buffer
      - .address_space:  global
        .offset:         8
        .size:           8
        .value_kind:     global_buffer
      - .address_space:  global
        .offset:         16
        .size:           8
        .value_kind:     global_buffer
      - .offset:         24
        .size:           4
        .value_kind:     hidden_block_count_x
      - .offset:         28
        .size:           4
        .value_kind:     hidden_block_count_y
      - .offset:         32
        .size:           4
        .value_kind:     hidden_block_count_z
      - .offset:         36
        .size:           2
        .value_kind:     hidden_group_size_x
      - .offset:         38
        .size:           2
        .value_kind:     hidden_group_size_y
      - .offset:         40
        .size:           2
        .value_kind:     hidden_group_size_z
      - .offset:         42
        .size:           2
        .value_kind:     hidden_remainder_x
      - .offset:         44
        .size:           2
        .value_kind:     hidden_remainder_y
      - .offset:         46
        .size:           2
        .value_kind:     hidden_remainder_z
      - .offset:         64
        .size:           8
        .value_kind:     hidden_global_offset_x
      - .offset:         72
        .size:           8
        .value_kind:     hidden_global_offset_y
      - .offset:         80
        .size:           8
        .value_kind:     hidden_global_offset_z
      - .offset:         88
        .size:           2
        .value_kind:     hidden_grid_dims
    .group_segment_fixed_size: 0
    .kernarg_segment_align: 8
    .kernarg_segment_size: 280
    .language:       OpenCL C
    .language_version:
      - 2
      - 0
    .max_flat_workgroup_size: 64
    .name:           _Z33head_segmented_warp_reduce_kernelIihLj64ELj16EENSt9enable_ifIXsr10test_utilsE35device_test_enabled_for_warp_size_vIXT2_EEEvE4typeEPT_PT0_S4_
    .private_segment_fixed_size: 0
    .sgpr_count:     18
    .sgpr_spill_count: 0
    .symbol:         _Z33head_segmented_warp_reduce_kernelIihLj64ELj16EENSt9enable_ifIXsr10test_utilsE35device_test_enabled_for_warp_size_vIXT2_EEEvE4typeEPT_PT0_S4_.kd
    .uniform_work_group_size: 1
    .uses_dynamic_stack: false
    .vgpr_count:     9
    .vgpr_spill_count: 0
    .wavefront_size: 32
    .workgroup_processor_mode: 1
  - .args:
      - .address_space:  global
        .offset:         0
        .size:           8
        .value_kind:     global_buffer
      - .address_space:  global
        .offset:         8
        .size:           8
        .value_kind:     global_buffer
      - .address_space:  global
        .offset:         16
        .size:           8
        .value_kind:     global_buffer
      - .offset:         24
        .size:           4
        .value_kind:     hidden_block_count_x
      - .offset:         28
        .size:           4
        .value_kind:     hidden_block_count_y
      - .offset:         32
        .size:           4
        .value_kind:     hidden_block_count_z
      - .offset:         36
        .size:           2
        .value_kind:     hidden_group_size_x
      - .offset:         38
        .size:           2
        .value_kind:     hidden_group_size_y
      - .offset:         40
        .size:           2
        .value_kind:     hidden_group_size_z
      - .offset:         42
        .size:           2
        .value_kind:     hidden_remainder_x
      - .offset:         44
        .size:           2
        .value_kind:     hidden_remainder_y
      - .offset:         46
        .size:           2
        .value_kind:     hidden_remainder_z
      - .offset:         64
        .size:           8
        .value_kind:     hidden_global_offset_x
      - .offset:         72
        .size:           8
        .value_kind:     hidden_global_offset_y
      - .offset:         80
        .size:           8
        .value_kind:     hidden_global_offset_z
      - .offset:         88
        .size:           2
        .value_kind:     hidden_grid_dims
    .group_segment_fixed_size: 0
    .kernarg_segment_align: 8
    .kernarg_segment_size: 280
    .language:       OpenCL C
    .language_version:
      - 2
      - 0
    .max_flat_workgroup_size: 32
    .name:           _Z33head_segmented_warp_reduce_kernelIihLj32ELj8EENSt9enable_ifIXsr10test_utilsE35device_test_enabled_for_warp_size_vIXT2_EEEvE4typeEPT_PT0_S4_
    .private_segment_fixed_size: 0
    .sgpr_count:     18
    .sgpr_spill_count: 0
    .symbol:         _Z33head_segmented_warp_reduce_kernelIihLj32ELj8EENSt9enable_ifIXsr10test_utilsE35device_test_enabled_for_warp_size_vIXT2_EEEvE4typeEPT_PT0_S4_.kd
    .uniform_work_group_size: 1
    .uses_dynamic_stack: false
    .vgpr_count:     9
    .vgpr_spill_count: 0
    .wavefront_size: 32
    .workgroup_processor_mode: 1
  - .args:
      - .address_space:  global
        .offset:         0
        .size:           8
        .value_kind:     global_buffer
      - .address_space:  global
        .offset:         8
        .size:           8
        .value_kind:     global_buffer
      - .address_space:  global
        .offset:         16
        .size:           8
        .value_kind:     global_buffer
      - .offset:         24
        .size:           4
        .value_kind:     hidden_block_count_x
      - .offset:         28
        .size:           4
        .value_kind:     hidden_block_count_y
      - .offset:         32
        .size:           4
        .value_kind:     hidden_block_count_z
      - .offset:         36
        .size:           2
        .value_kind:     hidden_group_size_x
      - .offset:         38
        .size:           2
        .value_kind:     hidden_group_size_y
      - .offset:         40
        .size:           2
        .value_kind:     hidden_group_size_z
      - .offset:         42
        .size:           2
        .value_kind:     hidden_remainder_x
      - .offset:         44
        .size:           2
        .value_kind:     hidden_remainder_y
      - .offset:         46
        .size:           2
        .value_kind:     hidden_remainder_z
      - .offset:         64
        .size:           8
        .value_kind:     hidden_global_offset_x
      - .offset:         72
        .size:           8
        .value_kind:     hidden_global_offset_y
      - .offset:         80
        .size:           8
        .value_kind:     hidden_global_offset_z
      - .offset:         88
        .size:           2
        .value_kind:     hidden_grid_dims
    .group_segment_fixed_size: 0
    .kernarg_segment_align: 8
    .kernarg_segment_size: 280
    .language:       OpenCL C
    .language_version:
      - 2
      - 0
    .max_flat_workgroup_size: 64
    .name:           _Z33head_segmented_warp_reduce_kernelIihLj64ELj8EENSt9enable_ifIXsr10test_utilsE35device_test_enabled_for_warp_size_vIXT2_EEEvE4typeEPT_PT0_S4_
    .private_segment_fixed_size: 0
    .sgpr_count:     18
    .sgpr_spill_count: 0
    .symbol:         _Z33head_segmented_warp_reduce_kernelIihLj64ELj8EENSt9enable_ifIXsr10test_utilsE35device_test_enabled_for_warp_size_vIXT2_EEEvE4typeEPT_PT0_S4_.kd
    .uniform_work_group_size: 1
    .uses_dynamic_stack: false
    .vgpr_count:     9
    .vgpr_spill_count: 0
    .wavefront_size: 32
    .workgroup_processor_mode: 1
  - .args:
      - .address_space:  global
        .offset:         0
        .size:           8
        .value_kind:     global_buffer
      - .address_space:  global
        .offset:         8
        .size:           8
        .value_kind:     global_buffer
      - .address_space:  global
        .offset:         16
        .size:           8
        .value_kind:     global_buffer
      - .offset:         24
        .size:           4
        .value_kind:     hidden_block_count_x
      - .offset:         28
        .size:           4
        .value_kind:     hidden_block_count_y
      - .offset:         32
        .size:           4
        .value_kind:     hidden_block_count_z
      - .offset:         36
        .size:           2
        .value_kind:     hidden_group_size_x
      - .offset:         38
        .size:           2
        .value_kind:     hidden_group_size_y
      - .offset:         40
        .size:           2
        .value_kind:     hidden_group_size_z
      - .offset:         42
        .size:           2
        .value_kind:     hidden_remainder_x
      - .offset:         44
        .size:           2
        .value_kind:     hidden_remainder_y
      - .offset:         46
        .size:           2
        .value_kind:     hidden_remainder_z
      - .offset:         64
        .size:           8
        .value_kind:     hidden_global_offset_x
      - .offset:         72
        .size:           8
        .value_kind:     hidden_global_offset_y
      - .offset:         80
        .size:           8
        .value_kind:     hidden_global_offset_z
      - .offset:         88
        .size:           2
        .value_kind:     hidden_grid_dims
    .group_segment_fixed_size: 0
    .kernarg_segment_align: 8
    .kernarg_segment_size: 280
    .language:       OpenCL C
    .language_version:
      - 2
      - 0
    .max_flat_workgroup_size: 32
    .name:           _Z33head_segmented_warp_reduce_kernelIihLj32ELj4EENSt9enable_ifIXsr10test_utilsE35device_test_enabled_for_warp_size_vIXT2_EEEvE4typeEPT_PT0_S4_
    .private_segment_fixed_size: 0
    .sgpr_count:     18
    .sgpr_spill_count: 0
    .symbol:         _Z33head_segmented_warp_reduce_kernelIihLj32ELj4EENSt9enable_ifIXsr10test_utilsE35device_test_enabled_for_warp_size_vIXT2_EEEvE4typeEPT_PT0_S4_.kd
    .uniform_work_group_size: 1
    .uses_dynamic_stack: false
    .vgpr_count:     8
    .vgpr_spill_count: 0
    .wavefront_size: 32
    .workgroup_processor_mode: 1
  - .args:
      - .address_space:  global
        .offset:         0
        .size:           8
        .value_kind:     global_buffer
      - .address_space:  global
        .offset:         8
        .size:           8
        .value_kind:     global_buffer
      - .address_space:  global
        .offset:         16
        .size:           8
        .value_kind:     global_buffer
      - .offset:         24
        .size:           4
        .value_kind:     hidden_block_count_x
      - .offset:         28
        .size:           4
        .value_kind:     hidden_block_count_y
      - .offset:         32
        .size:           4
        .value_kind:     hidden_block_count_z
      - .offset:         36
        .size:           2
        .value_kind:     hidden_group_size_x
      - .offset:         38
        .size:           2
        .value_kind:     hidden_group_size_y
      - .offset:         40
        .size:           2
        .value_kind:     hidden_group_size_z
      - .offset:         42
        .size:           2
        .value_kind:     hidden_remainder_x
      - .offset:         44
        .size:           2
        .value_kind:     hidden_remainder_y
      - .offset:         46
        .size:           2
        .value_kind:     hidden_remainder_z
      - .offset:         64
        .size:           8
        .value_kind:     hidden_global_offset_x
      - .offset:         72
        .size:           8
        .value_kind:     hidden_global_offset_y
      - .offset:         80
        .size:           8
        .value_kind:     hidden_global_offset_z
      - .offset:         88
        .size:           2
        .value_kind:     hidden_grid_dims
    .group_segment_fixed_size: 0
    .kernarg_segment_align: 8
    .kernarg_segment_size: 280
    .language:       OpenCL C
    .language_version:
      - 2
      - 0
    .max_flat_workgroup_size: 64
    .name:           _Z33head_segmented_warp_reduce_kernelIihLj64ELj4EENSt9enable_ifIXsr10test_utilsE35device_test_enabled_for_warp_size_vIXT2_EEEvE4typeEPT_PT0_S4_
    .private_segment_fixed_size: 0
    .sgpr_count:     18
    .sgpr_spill_count: 0
    .symbol:         _Z33head_segmented_warp_reduce_kernelIihLj64ELj4EENSt9enable_ifIXsr10test_utilsE35device_test_enabled_for_warp_size_vIXT2_EEEvE4typeEPT_PT0_S4_.kd
    .uniform_work_group_size: 1
    .uses_dynamic_stack: false
    .vgpr_count:     8
    .vgpr_spill_count: 0
    .wavefront_size: 32
    .workgroup_processor_mode: 1
  - .args:
      - .address_space:  global
        .offset:         0
        .size:           8
        .value_kind:     global_buffer
      - .address_space:  global
        .offset:         8
        .size:           8
        .value_kind:     global_buffer
      - .address_space:  global
        .offset:         16
        .size:           8
        .value_kind:     global_buffer
      - .offset:         24
        .size:           4
        .value_kind:     hidden_block_count_x
      - .offset:         28
        .size:           4
        .value_kind:     hidden_block_count_y
      - .offset:         32
        .size:           4
        .value_kind:     hidden_block_count_z
      - .offset:         36
        .size:           2
        .value_kind:     hidden_group_size_x
      - .offset:         38
        .size:           2
        .value_kind:     hidden_group_size_y
      - .offset:         40
        .size:           2
        .value_kind:     hidden_group_size_z
      - .offset:         42
        .size:           2
        .value_kind:     hidden_remainder_x
      - .offset:         44
        .size:           2
        .value_kind:     hidden_remainder_y
      - .offset:         46
        .size:           2
        .value_kind:     hidden_remainder_z
      - .offset:         64
        .size:           8
        .value_kind:     hidden_global_offset_x
      - .offset:         72
        .size:           8
        .value_kind:     hidden_global_offset_y
      - .offset:         80
        .size:           8
        .value_kind:     hidden_global_offset_z
      - .offset:         88
        .size:           2
        .value_kind:     hidden_grid_dims
    .group_segment_fixed_size: 0
    .kernarg_segment_align: 8
    .kernarg_segment_size: 280
    .language:       OpenCL C
    .language_version:
      - 2
      - 0
    .max_flat_workgroup_size: 32
    .name:           _Z33head_segmented_warp_reduce_kernelIihLj32ELj2EENSt9enable_ifIXsr10test_utilsE35device_test_enabled_for_warp_size_vIXT2_EEEvE4typeEPT_PT0_S4_
    .private_segment_fixed_size: 0
    .sgpr_count:     18
    .sgpr_spill_count: 0
    .symbol:         _Z33head_segmented_warp_reduce_kernelIihLj32ELj2EENSt9enable_ifIXsr10test_utilsE35device_test_enabled_for_warp_size_vIXT2_EEEvE4typeEPT_PT0_S4_.kd
    .uniform_work_group_size: 1
    .uses_dynamic_stack: false
    .vgpr_count:     7
    .vgpr_spill_count: 0
    .wavefront_size: 32
    .workgroup_processor_mode: 1
  - .args:
      - .address_space:  global
        .offset:         0
        .size:           8
        .value_kind:     global_buffer
      - .address_space:  global
        .offset:         8
        .size:           8
        .value_kind:     global_buffer
      - .address_space:  global
        .offset:         16
        .size:           8
        .value_kind:     global_buffer
      - .offset:         24
        .size:           4
        .value_kind:     hidden_block_count_x
      - .offset:         28
        .size:           4
        .value_kind:     hidden_block_count_y
      - .offset:         32
        .size:           4
        .value_kind:     hidden_block_count_z
      - .offset:         36
        .size:           2
        .value_kind:     hidden_group_size_x
      - .offset:         38
        .size:           2
        .value_kind:     hidden_group_size_y
      - .offset:         40
        .size:           2
        .value_kind:     hidden_group_size_z
      - .offset:         42
        .size:           2
        .value_kind:     hidden_remainder_x
      - .offset:         44
        .size:           2
        .value_kind:     hidden_remainder_y
      - .offset:         46
        .size:           2
        .value_kind:     hidden_remainder_z
      - .offset:         64
        .size:           8
        .value_kind:     hidden_global_offset_x
      - .offset:         72
        .size:           8
        .value_kind:     hidden_global_offset_y
      - .offset:         80
        .size:           8
        .value_kind:     hidden_global_offset_z
      - .offset:         88
        .size:           2
        .value_kind:     hidden_grid_dims
    .group_segment_fixed_size: 0
    .kernarg_segment_align: 8
    .kernarg_segment_size: 280
    .language:       OpenCL C
    .language_version:
      - 2
      - 0
    .max_flat_workgroup_size: 64
    .name:           _Z33head_segmented_warp_reduce_kernelIihLj64ELj2EENSt9enable_ifIXsr10test_utilsE35device_test_enabled_for_warp_size_vIXT2_EEEvE4typeEPT_PT0_S4_
    .private_segment_fixed_size: 0
    .sgpr_count:     18
    .sgpr_spill_count: 0
    .symbol:         _Z33head_segmented_warp_reduce_kernelIihLj64ELj2EENSt9enable_ifIXsr10test_utilsE35device_test_enabled_for_warp_size_vIXT2_EEEvE4typeEPT_PT0_S4_.kd
    .uniform_work_group_size: 1
    .uses_dynamic_stack: false
    .vgpr_count:     7
    .vgpr_spill_count: 0
    .wavefront_size: 32
    .workgroup_processor_mode: 1
  - .args:
      - .address_space:  global
        .offset:         0
        .size:           8
        .value_kind:     global_buffer
      - .address_space:  global
        .offset:         8
        .size:           8
        .value_kind:     global_buffer
      - .address_space:  global
        .offset:         16
        .size:           8
        .value_kind:     global_buffer
      - .offset:         24
        .size:           4
        .value_kind:     hidden_block_count_x
      - .offset:         28
        .size:           4
        .value_kind:     hidden_block_count_y
      - .offset:         32
        .size:           4
        .value_kind:     hidden_block_count_z
      - .offset:         36
        .size:           2
        .value_kind:     hidden_group_size_x
      - .offset:         38
        .size:           2
        .value_kind:     hidden_group_size_y
      - .offset:         40
        .size:           2
        .value_kind:     hidden_group_size_z
      - .offset:         42
        .size:           2
        .value_kind:     hidden_remainder_x
      - .offset:         44
        .size:           2
        .value_kind:     hidden_remainder_y
      - .offset:         46
        .size:           2
        .value_kind:     hidden_remainder_z
      - .offset:         64
        .size:           8
        .value_kind:     hidden_global_offset_x
      - .offset:         72
        .size:           8
        .value_kind:     hidden_global_offset_y
      - .offset:         80
        .size:           8
        .value_kind:     hidden_global_offset_z
      - .offset:         88
        .size:           2
        .value_kind:     hidden_grid_dims
    .group_segment_fixed_size: 0
    .kernarg_segment_align: 8
    .kernarg_segment_size: 280
    .language:       OpenCL C
    .language_version:
      - 2
      - 0
    .max_flat_workgroup_size: 32
    .name:           _Z33head_segmented_warp_reduce_kernelIihLj32ELj1EENSt9enable_ifIXsr10test_utilsE35device_test_enabled_for_warp_size_vIXT2_EEEvE4typeEPT_PT0_S4_
    .private_segment_fixed_size: 0
    .sgpr_count:     18
    .sgpr_spill_count: 0
    .symbol:         _Z33head_segmented_warp_reduce_kernelIihLj32ELj1EENSt9enable_ifIXsr10test_utilsE35device_test_enabled_for_warp_size_vIXT2_EEEvE4typeEPT_PT0_S4_.kd
    .uniform_work_group_size: 1
    .uses_dynamic_stack: false
    .vgpr_count:     4
    .vgpr_spill_count: 0
    .wavefront_size: 32
    .workgroup_processor_mode: 1
  - .args:
      - .address_space:  global
        .offset:         0
        .size:           8
        .value_kind:     global_buffer
      - .address_space:  global
        .offset:         8
        .size:           8
        .value_kind:     global_buffer
      - .address_space:  global
        .offset:         16
        .size:           8
        .value_kind:     global_buffer
      - .offset:         24
        .size:           4
        .value_kind:     hidden_block_count_x
      - .offset:         28
        .size:           4
        .value_kind:     hidden_block_count_y
      - .offset:         32
        .size:           4
        .value_kind:     hidden_block_count_z
      - .offset:         36
        .size:           2
        .value_kind:     hidden_group_size_x
      - .offset:         38
        .size:           2
        .value_kind:     hidden_group_size_y
      - .offset:         40
        .size:           2
        .value_kind:     hidden_group_size_z
      - .offset:         42
        .size:           2
        .value_kind:     hidden_remainder_x
      - .offset:         44
        .size:           2
        .value_kind:     hidden_remainder_y
      - .offset:         46
        .size:           2
        .value_kind:     hidden_remainder_z
      - .offset:         64
        .size:           8
        .value_kind:     hidden_global_offset_x
      - .offset:         72
        .size:           8
        .value_kind:     hidden_global_offset_y
      - .offset:         80
        .size:           8
        .value_kind:     hidden_global_offset_z
      - .offset:         88
        .size:           2
        .value_kind:     hidden_grid_dims
    .group_segment_fixed_size: 0
    .kernarg_segment_align: 8
    .kernarg_segment_size: 280
    .language:       OpenCL C
    .language_version:
      - 2
      - 0
    .max_flat_workgroup_size: 64
    .name:           _Z33head_segmented_warp_reduce_kernelIihLj64ELj1EENSt9enable_ifIXsr10test_utilsE35device_test_enabled_for_warp_size_vIXT2_EEEvE4typeEPT_PT0_S4_
    .private_segment_fixed_size: 0
    .sgpr_count:     18
    .sgpr_spill_count: 0
    .symbol:         _Z33head_segmented_warp_reduce_kernelIihLj64ELj1EENSt9enable_ifIXsr10test_utilsE35device_test_enabled_for_warp_size_vIXT2_EEEvE4typeEPT_PT0_S4_.kd
    .uniform_work_group_size: 1
    .uses_dynamic_stack: false
    .vgpr_count:     4
    .vgpr_spill_count: 0
    .wavefront_size: 32
    .workgroup_processor_mode: 1
  - .args:
      - .address_space:  global
        .offset:         0
        .size:           8
        .value_kind:     global_buffer
      - .address_space:  global
        .offset:         8
        .size:           8
        .value_kind:     global_buffer
      - .address_space:  global
        .offset:         16
        .size:           8
        .value_kind:     global_buffer
    .group_segment_fixed_size: 0
    .kernarg_segment_align: 8
    .kernarg_segment_size: 24
    .language:       OpenCL C
    .language_version:
      - 2
      - 0
    .max_flat_workgroup_size: 1
    .name:           _Z33tail_segmented_warp_reduce_kernelIfhLj1ELj61EENSt9enable_ifIXntsr10test_utilsE35device_test_enabled_for_warp_size_vIXT2_EEEvE4typeEPT_PT0_S4_
    .private_segment_fixed_size: 0
    .sgpr_count:     0
    .sgpr_spill_count: 0
    .symbol:         _Z33tail_segmented_warp_reduce_kernelIfhLj1ELj61EENSt9enable_ifIXntsr10test_utilsE35device_test_enabled_for_warp_size_vIXT2_EEEvE4typeEPT_PT0_S4_.kd
    .uniform_work_group_size: 1
    .uses_dynamic_stack: false
    .vgpr_count:     0
    .vgpr_spill_count: 0
    .wavefront_size: 32
    .workgroup_processor_mode: 1
  - .args:
      - .address_space:  global
        .offset:         0
        .size:           8
        .value_kind:     global_buffer
      - .address_space:  global
        .offset:         8
        .size:           8
        .value_kind:     global_buffer
      - .address_space:  global
        .offset:         16
        .size:           8
        .value_kind:     global_buffer
    .group_segment_fixed_size: 0
    .kernarg_segment_align: 8
    .kernarg_segment_size: 24
    .language:       OpenCL C
    .language_version:
      - 2
      - 0
    .max_flat_workgroup_size: 61
    .name:           _Z33tail_segmented_warp_reduce_kernelIfhLj61ELj61EENSt9enable_ifIXntsr10test_utilsE35device_test_enabled_for_warp_size_vIXT2_EEEvE4typeEPT_PT0_S4_
    .private_segment_fixed_size: 0
    .sgpr_count:     0
    .sgpr_spill_count: 0
    .symbol:         _Z33tail_segmented_warp_reduce_kernelIfhLj61ELj61EENSt9enable_ifIXntsr10test_utilsE35device_test_enabled_for_warp_size_vIXT2_EEEvE4typeEPT_PT0_S4_.kd
    .uniform_work_group_size: 1
    .uses_dynamic_stack: false
    .vgpr_count:     0
    .vgpr_spill_count: 0
    .wavefront_size: 32
    .workgroup_processor_mode: 1
  - .args:
      - .address_space:  global
        .offset:         0
        .size:           8
        .value_kind:     global_buffer
      - .address_space:  global
        .offset:         8
        .size:           8
        .value_kind:     global_buffer
      - .address_space:  global
        .offset:         16
        .size:           8
        .value_kind:     global_buffer
    .group_segment_fixed_size: 0
    .kernarg_segment_align: 8
    .kernarg_segment_size: 24
    .language:       OpenCL C
    .language_version:
      - 2
      - 0
    .max_flat_workgroup_size: 1
    .name:           _Z33tail_segmented_warp_reduce_kernelIfhLj1ELj37EENSt9enable_ifIXntsr10test_utilsE35device_test_enabled_for_warp_size_vIXT2_EEEvE4typeEPT_PT0_S4_
    .private_segment_fixed_size: 0
    .sgpr_count:     0
    .sgpr_spill_count: 0
    .symbol:         _Z33tail_segmented_warp_reduce_kernelIfhLj1ELj37EENSt9enable_ifIXntsr10test_utilsE35device_test_enabled_for_warp_size_vIXT2_EEEvE4typeEPT_PT0_S4_.kd
    .uniform_work_group_size: 1
    .uses_dynamic_stack: false
    .vgpr_count:     0
    .vgpr_spill_count: 0
    .wavefront_size: 32
    .workgroup_processor_mode: 1
  - .args:
      - .address_space:  global
        .offset:         0
        .size:           8
        .value_kind:     global_buffer
      - .address_space:  global
        .offset:         8
        .size:           8
        .value_kind:     global_buffer
      - .address_space:  global
        .offset:         16
        .size:           8
        .value_kind:     global_buffer
    .group_segment_fixed_size: 0
    .kernarg_segment_align: 8
    .kernarg_segment_size: 24
    .language:       OpenCL C
    .language_version:
      - 2
      - 0
    .max_flat_workgroup_size: 37
    .name:           _Z33tail_segmented_warp_reduce_kernelIfhLj37ELj37EENSt9enable_ifIXntsr10test_utilsE35device_test_enabled_for_warp_size_vIXT2_EEEvE4typeEPT_PT0_S4_
    .private_segment_fixed_size: 0
    .sgpr_count:     0
    .sgpr_spill_count: 0
    .symbol:         _Z33tail_segmented_warp_reduce_kernelIfhLj37ELj37EENSt9enable_ifIXntsr10test_utilsE35device_test_enabled_for_warp_size_vIXT2_EEEvE4typeEPT_PT0_S4_.kd
    .uniform_work_group_size: 1
    .uses_dynamic_stack: false
    .vgpr_count:     0
    .vgpr_spill_count: 0
    .wavefront_size: 32
    .workgroup_processor_mode: 1
  - .args:
      - .address_space:  global
        .offset:         0
        .size:           8
        .value_kind:     global_buffer
      - .address_space:  global
        .offset:         8
        .size:           8
        .value_kind:     global_buffer
      - .address_space:  global
        .offset:         16
        .size:           8
        .value_kind:     global_buffer
      - .offset:         24
        .size:           4
        .value_kind:     hidden_block_count_x
      - .offset:         28
        .size:           4
        .value_kind:     hidden_block_count_y
      - .offset:         32
        .size:           4
        .value_kind:     hidden_block_count_z
      - .offset:         36
        .size:           2
        .value_kind:     hidden_group_size_x
      - .offset:         38
        .size:           2
        .value_kind:     hidden_group_size_y
      - .offset:         40
        .size:           2
        .value_kind:     hidden_group_size_z
      - .offset:         42
        .size:           2
        .value_kind:     hidden_remainder_x
      - .offset:         44
        .size:           2
        .value_kind:     hidden_remainder_y
      - .offset:         46
        .size:           2
        .value_kind:     hidden_remainder_z
      - .offset:         64
        .size:           8
        .value_kind:     hidden_global_offset_x
      - .offset:         72
        .size:           8
        .value_kind:     hidden_global_offset_y
      - .offset:         80
        .size:           8
        .value_kind:     hidden_global_offset_z
      - .offset:         88
        .size:           2
        .value_kind:     hidden_grid_dims
    .group_segment_fixed_size: 120
    .kernarg_segment_align: 8
    .kernarg_segment_size: 280
    .language:       OpenCL C
    .language_version:
      - 2
      - 0
    .max_flat_workgroup_size: 30
    .name:           _Z33tail_segmented_warp_reduce_kernelIfhLj30ELj15EENSt9enable_ifIXsr10test_utilsE35device_test_enabled_for_warp_size_vIXT2_EEEvE4typeEPT_PT0_S4_
    .private_segment_fixed_size: 0
    .sgpr_count:     18
    .sgpr_spill_count: 0
    .symbol:         _Z33tail_segmented_warp_reduce_kernelIfhLj30ELj15EENSt9enable_ifIXsr10test_utilsE35device_test_enabled_for_warp_size_vIXT2_EEEvE4typeEPT_PT0_S4_.kd
    .uniform_work_group_size: 1
    .uses_dynamic_stack: false
    .vgpr_count:     7
    .vgpr_spill_count: 0
    .wavefront_size: 32
    .workgroup_processor_mode: 1
  - .args:
      - .address_space:  global
        .offset:         0
        .size:           8
        .value_kind:     global_buffer
      - .address_space:  global
        .offset:         8
        .size:           8
        .value_kind:     global_buffer
      - .address_space:  global
        .offset:         16
        .size:           8
        .value_kind:     global_buffer
      - .offset:         24
        .size:           4
        .value_kind:     hidden_block_count_x
      - .offset:         28
        .size:           4
        .value_kind:     hidden_block_count_y
      - .offset:         32
        .size:           4
        .value_kind:     hidden_block_count_z
      - .offset:         36
        .size:           2
        .value_kind:     hidden_group_size_x
      - .offset:         38
        .size:           2
        .value_kind:     hidden_group_size_y
      - .offset:         40
        .size:           2
        .value_kind:     hidden_group_size_z
      - .offset:         42
        .size:           2
        .value_kind:     hidden_remainder_x
      - .offset:         44
        .size:           2
        .value_kind:     hidden_remainder_y
      - .offset:         46
        .size:           2
        .value_kind:     hidden_remainder_z
      - .offset:         64
        .size:           8
        .value_kind:     hidden_global_offset_x
      - .offset:         72
        .size:           8
        .value_kind:     hidden_global_offset_y
      - .offset:         80
        .size:           8
        .value_kind:     hidden_global_offset_z
      - .offset:         88
        .size:           2
        .value_kind:     hidden_grid_dims
    .group_segment_fixed_size: 240
    .kernarg_segment_align: 8
    .kernarg_segment_size: 280
    .language:       OpenCL C
    .language_version:
      - 2
      - 0
    .max_flat_workgroup_size: 60
    .name:           _Z33tail_segmented_warp_reduce_kernelIfhLj60ELj15EENSt9enable_ifIXsr10test_utilsE35device_test_enabled_for_warp_size_vIXT2_EEEvE4typeEPT_PT0_S4_
    .private_segment_fixed_size: 0
    .sgpr_count:     18
    .sgpr_spill_count: 0
    .symbol:         _Z33tail_segmented_warp_reduce_kernelIfhLj60ELj15EENSt9enable_ifIXsr10test_utilsE35device_test_enabled_for_warp_size_vIXT2_EEEvE4typeEPT_PT0_S4_.kd
    .uniform_work_group_size: 1
    .uses_dynamic_stack: false
    .vgpr_count:     7
    .vgpr_spill_count: 0
    .wavefront_size: 32
    .workgroup_processor_mode: 1
  - .args:
      - .address_space:  global
        .offset:         0
        .size:           8
        .value_kind:     global_buffer
      - .address_space:  global
        .offset:         8
        .size:           8
        .value_kind:     global_buffer
      - .address_space:  global
        .offset:         16
        .size:           8
        .value_kind:     global_buffer
      - .offset:         24
        .size:           4
        .value_kind:     hidden_block_count_x
      - .offset:         28
        .size:           4
        .value_kind:     hidden_block_count_y
      - .offset:         32
        .size:           4
        .value_kind:     hidden_block_count_z
      - .offset:         36
        .size:           2
        .value_kind:     hidden_group_size_x
      - .offset:         38
        .size:           2
        .value_kind:     hidden_group_size_y
      - .offset:         40
        .size:           2
        .value_kind:     hidden_group_size_z
      - .offset:         42
        .size:           2
        .value_kind:     hidden_remainder_x
      - .offset:         44
        .size:           2
        .value_kind:     hidden_remainder_y
      - .offset:         46
        .size:           2
        .value_kind:     hidden_remainder_z
      - .offset:         64
        .size:           8
        .value_kind:     hidden_global_offset_x
      - .offset:         72
        .size:           8
        .value_kind:     hidden_global_offset_y
      - .offset:         80
        .size:           8
        .value_kind:     hidden_global_offset_z
      - .offset:         88
        .size:           2
        .value_kind:     hidden_grid_dims
    .group_segment_fixed_size: 112
    .kernarg_segment_align: 8
    .kernarg_segment_size: 280
    .language:       OpenCL C
    .language_version:
      - 2
      - 0
    .max_flat_workgroup_size: 28
    .name:           _Z33tail_segmented_warp_reduce_kernelIfhLj28ELj7EENSt9enable_ifIXsr10test_utilsE35device_test_enabled_for_warp_size_vIXT2_EEEvE4typeEPT_PT0_S4_
    .private_segment_fixed_size: 0
    .sgpr_count:     18
    .sgpr_spill_count: 0
    .symbol:         _Z33tail_segmented_warp_reduce_kernelIfhLj28ELj7EENSt9enable_ifIXsr10test_utilsE35device_test_enabled_for_warp_size_vIXT2_EEEvE4typeEPT_PT0_S4_.kd
    .uniform_work_group_size: 1
    .uses_dynamic_stack: false
    .vgpr_count:     7
    .vgpr_spill_count: 0
    .wavefront_size: 32
    .workgroup_processor_mode: 1
  - .args:
      - .address_space:  global
        .offset:         0
        .size:           8
        .value_kind:     global_buffer
      - .address_space:  global
        .offset:         8
        .size:           8
        .value_kind:     global_buffer
      - .address_space:  global
        .offset:         16
        .size:           8
        .value_kind:     global_buffer
      - .offset:         24
        .size:           4
        .value_kind:     hidden_block_count_x
      - .offset:         28
        .size:           4
        .value_kind:     hidden_block_count_y
      - .offset:         32
        .size:           4
        .value_kind:     hidden_block_count_z
      - .offset:         36
        .size:           2
        .value_kind:     hidden_group_size_x
      - .offset:         38
        .size:           2
        .value_kind:     hidden_group_size_y
      - .offset:         40
        .size:           2
        .value_kind:     hidden_group_size_z
      - .offset:         42
        .size:           2
        .value_kind:     hidden_remainder_x
      - .offset:         44
        .size:           2
        .value_kind:     hidden_remainder_y
      - .offset:         46
        .size:           2
        .value_kind:     hidden_remainder_z
      - .offset:         64
        .size:           8
        .value_kind:     hidden_global_offset_x
      - .offset:         72
        .size:           8
        .value_kind:     hidden_global_offset_y
      - .offset:         80
        .size:           8
        .value_kind:     hidden_global_offset_z
      - .offset:         88
        .size:           2
        .value_kind:     hidden_grid_dims
    .group_segment_fixed_size: 252
    .kernarg_segment_align: 8
    .kernarg_segment_size: 280
    .language:       OpenCL C
    .language_version:
      - 2
      - 0
    .max_flat_workgroup_size: 63
    .name:           _Z33tail_segmented_warp_reduce_kernelIfhLj63ELj7EENSt9enable_ifIXsr10test_utilsE35device_test_enabled_for_warp_size_vIXT2_EEEvE4typeEPT_PT0_S4_
    .private_segment_fixed_size: 0
    .sgpr_count:     18
    .sgpr_spill_count: 0
    .symbol:         _Z33tail_segmented_warp_reduce_kernelIfhLj63ELj7EENSt9enable_ifIXsr10test_utilsE35device_test_enabled_for_warp_size_vIXT2_EEEvE4typeEPT_PT0_S4_.kd
    .uniform_work_group_size: 1
    .uses_dynamic_stack: false
    .vgpr_count:     7
    .vgpr_spill_count: 0
    .wavefront_size: 32
    .workgroup_processor_mode: 1
  - .args:
      - .address_space:  global
        .offset:         0
        .size:           8
        .value_kind:     global_buffer
      - .address_space:  global
        .offset:         8
        .size:           8
        .value_kind:     global_buffer
      - .address_space:  global
        .offset:         16
        .size:           8
        .value_kind:     global_buffer
      - .offset:         24
        .size:           4
        .value_kind:     hidden_block_count_x
      - .offset:         28
        .size:           4
        .value_kind:     hidden_block_count_y
      - .offset:         32
        .size:           4
        .value_kind:     hidden_block_count_z
      - .offset:         36
        .size:           2
        .value_kind:     hidden_group_size_x
      - .offset:         38
        .size:           2
        .value_kind:     hidden_group_size_y
      - .offset:         40
        .size:           2
        .value_kind:     hidden_group_size_z
      - .offset:         42
        .size:           2
        .value_kind:     hidden_remainder_x
      - .offset:         44
        .size:           2
        .value_kind:     hidden_remainder_y
      - .offset:         46
        .size:           2
        .value_kind:     hidden_remainder_z
      - .offset:         64
        .size:           8
        .value_kind:     hidden_global_offset_x
      - .offset:         72
        .size:           8
        .value_kind:     hidden_global_offset_y
      - .offset:         80
        .size:           8
        .value_kind:     hidden_global_offset_z
      - .offset:         88
        .size:           2
        .value_kind:     hidden_grid_dims
    .group_segment_fixed_size: 120
    .kernarg_segment_align: 8
    .kernarg_segment_size: 280
    .language:       OpenCL C
    .language_version:
      - 2
      - 0
    .max_flat_workgroup_size: 30
    .name:           _Z33tail_segmented_warp_reduce_kernelIfhLj30ELj3EENSt9enable_ifIXsr10test_utilsE35device_test_enabled_for_warp_size_vIXT2_EEEvE4typeEPT_PT0_S4_
    .private_segment_fixed_size: 0
    .sgpr_count:     18
    .sgpr_spill_count: 0
    .symbol:         _Z33tail_segmented_warp_reduce_kernelIfhLj30ELj3EENSt9enable_ifIXsr10test_utilsE35device_test_enabled_for_warp_size_vIXT2_EEEvE4typeEPT_PT0_S4_.kd
    .uniform_work_group_size: 1
    .uses_dynamic_stack: false
    .vgpr_count:     7
    .vgpr_spill_count: 0
    .wavefront_size: 32
    .workgroup_processor_mode: 1
  - .args:
      - .address_space:  global
        .offset:         0
        .size:           8
        .value_kind:     global_buffer
      - .address_space:  global
        .offset:         8
        .size:           8
        .value_kind:     global_buffer
      - .address_space:  global
        .offset:         16
        .size:           8
        .value_kind:     global_buffer
      - .offset:         24
        .size:           4
        .value_kind:     hidden_block_count_x
      - .offset:         28
        .size:           4
        .value_kind:     hidden_block_count_y
      - .offset:         32
        .size:           4
        .value_kind:     hidden_block_count_z
      - .offset:         36
        .size:           2
        .value_kind:     hidden_group_size_x
      - .offset:         38
        .size:           2
        .value_kind:     hidden_group_size_y
      - .offset:         40
        .size:           2
        .value_kind:     hidden_group_size_z
      - .offset:         42
        .size:           2
        .value_kind:     hidden_remainder_x
      - .offset:         44
        .size:           2
        .value_kind:     hidden_remainder_y
      - .offset:         46
        .size:           2
        .value_kind:     hidden_remainder_z
      - .offset:         64
        .size:           8
        .value_kind:     hidden_global_offset_x
      - .offset:         72
        .size:           8
        .value_kind:     hidden_global_offset_y
      - .offset:         80
        .size:           8
        .value_kind:     hidden_global_offset_z
      - .offset:         88
        .size:           2
        .value_kind:     hidden_grid_dims
    .group_segment_fixed_size: 252
    .kernarg_segment_align: 8
    .kernarg_segment_size: 280
    .language:       OpenCL C
    .language_version:
      - 2
      - 0
    .max_flat_workgroup_size: 63
    .name:           _Z33tail_segmented_warp_reduce_kernelIfhLj63ELj3EENSt9enable_ifIXsr10test_utilsE35device_test_enabled_for_warp_size_vIXT2_EEEvE4typeEPT_PT0_S4_
    .private_segment_fixed_size: 0
    .sgpr_count:     18
    .sgpr_spill_count: 0
    .symbol:         _Z33tail_segmented_warp_reduce_kernelIfhLj63ELj3EENSt9enable_ifIXsr10test_utilsE35device_test_enabled_for_warp_size_vIXT2_EEEvE4typeEPT_PT0_S4_.kd
    .uniform_work_group_size: 1
    .uses_dynamic_stack: false
    .vgpr_count:     7
    .vgpr_spill_count: 0
    .wavefront_size: 32
    .workgroup_processor_mode: 1
  - .args:
      - .address_space:  global
        .offset:         0
        .size:           8
        .value_kind:     global_buffer
      - .address_space:  global
        .offset:         8
        .size:           8
        .value_kind:     global_buffer
      - .address_space:  global
        .offset:         16
        .size:           8
        .value_kind:     global_buffer
    .group_segment_fixed_size: 0
    .kernarg_segment_align: 8
    .kernarg_segment_size: 24
    .language:       OpenCL C
    .language_version:
      - 2
      - 0
    .max_flat_workgroup_size: 1
    .name:           _Z33tail_segmented_warp_reduce_kernelIihLj1ELj61EENSt9enable_ifIXntsr10test_utilsE35device_test_enabled_for_warp_size_vIXT2_EEEvE4typeEPT_PT0_S4_
    .private_segment_fixed_size: 0
    .sgpr_count:     0
    .sgpr_spill_count: 0
    .symbol:         _Z33tail_segmented_warp_reduce_kernelIihLj1ELj61EENSt9enable_ifIXntsr10test_utilsE35device_test_enabled_for_warp_size_vIXT2_EEEvE4typeEPT_PT0_S4_.kd
    .uniform_work_group_size: 1
    .uses_dynamic_stack: false
    .vgpr_count:     0
    .vgpr_spill_count: 0
    .wavefront_size: 32
    .workgroup_processor_mode: 1
  - .args:
      - .address_space:  global
        .offset:         0
        .size:           8
        .value_kind:     global_buffer
      - .address_space:  global
        .offset:         8
        .size:           8
        .value_kind:     global_buffer
      - .address_space:  global
        .offset:         16
        .size:           8
        .value_kind:     global_buffer
    .group_segment_fixed_size: 0
    .kernarg_segment_align: 8
    .kernarg_segment_size: 24
    .language:       OpenCL C
    .language_version:
      - 2
      - 0
    .max_flat_workgroup_size: 61
    .name:           _Z33tail_segmented_warp_reduce_kernelIihLj61ELj61EENSt9enable_ifIXntsr10test_utilsE35device_test_enabled_for_warp_size_vIXT2_EEEvE4typeEPT_PT0_S4_
    .private_segment_fixed_size: 0
    .sgpr_count:     0
    .sgpr_spill_count: 0
    .symbol:         _Z33tail_segmented_warp_reduce_kernelIihLj61ELj61EENSt9enable_ifIXntsr10test_utilsE35device_test_enabled_for_warp_size_vIXT2_EEEvE4typeEPT_PT0_S4_.kd
    .uniform_work_group_size: 1
    .uses_dynamic_stack: false
    .vgpr_count:     0
    .vgpr_spill_count: 0
    .wavefront_size: 32
    .workgroup_processor_mode: 1
  - .args:
      - .address_space:  global
        .offset:         0
        .size:           8
        .value_kind:     global_buffer
      - .address_space:  global
        .offset:         8
        .size:           8
        .value_kind:     global_buffer
      - .address_space:  global
        .offset:         16
        .size:           8
        .value_kind:     global_buffer
    .group_segment_fixed_size: 0
    .kernarg_segment_align: 8
    .kernarg_segment_size: 24
    .language:       OpenCL C
    .language_version:
      - 2
      - 0
    .max_flat_workgroup_size: 1
    .name:           _Z33tail_segmented_warp_reduce_kernelIihLj1ELj37EENSt9enable_ifIXntsr10test_utilsE35device_test_enabled_for_warp_size_vIXT2_EEEvE4typeEPT_PT0_S4_
    .private_segment_fixed_size: 0
    .sgpr_count:     0
    .sgpr_spill_count: 0
    .symbol:         _Z33tail_segmented_warp_reduce_kernelIihLj1ELj37EENSt9enable_ifIXntsr10test_utilsE35device_test_enabled_for_warp_size_vIXT2_EEEvE4typeEPT_PT0_S4_.kd
    .uniform_work_group_size: 1
    .uses_dynamic_stack: false
    .vgpr_count:     0
    .vgpr_spill_count: 0
    .wavefront_size: 32
    .workgroup_processor_mode: 1
  - .args:
      - .address_space:  global
        .offset:         0
        .size:           8
        .value_kind:     global_buffer
      - .address_space:  global
        .offset:         8
        .size:           8
        .value_kind:     global_buffer
      - .address_space:  global
        .offset:         16
        .size:           8
        .value_kind:     global_buffer
    .group_segment_fixed_size: 0
    .kernarg_segment_align: 8
    .kernarg_segment_size: 24
    .language:       OpenCL C
    .language_version:
      - 2
      - 0
    .max_flat_workgroup_size: 37
    .name:           _Z33tail_segmented_warp_reduce_kernelIihLj37ELj37EENSt9enable_ifIXntsr10test_utilsE35device_test_enabled_for_warp_size_vIXT2_EEEvE4typeEPT_PT0_S4_
    .private_segment_fixed_size: 0
    .sgpr_count:     0
    .sgpr_spill_count: 0
    .symbol:         _Z33tail_segmented_warp_reduce_kernelIihLj37ELj37EENSt9enable_ifIXntsr10test_utilsE35device_test_enabled_for_warp_size_vIXT2_EEEvE4typeEPT_PT0_S4_.kd
    .uniform_work_group_size: 1
    .uses_dynamic_stack: false
    .vgpr_count:     0
    .vgpr_spill_count: 0
    .wavefront_size: 32
    .workgroup_processor_mode: 1
  - .args:
      - .address_space:  global
        .offset:         0
        .size:           8
        .value_kind:     global_buffer
      - .address_space:  global
        .offset:         8
        .size:           8
        .value_kind:     global_buffer
      - .address_space:  global
        .offset:         16
        .size:           8
        .value_kind:     global_buffer
      - .offset:         24
        .size:           4
        .value_kind:     hidden_block_count_x
      - .offset:         28
        .size:           4
        .value_kind:     hidden_block_count_y
      - .offset:         32
        .size:           4
        .value_kind:     hidden_block_count_z
      - .offset:         36
        .size:           2
        .value_kind:     hidden_group_size_x
      - .offset:         38
        .size:           2
        .value_kind:     hidden_group_size_y
      - .offset:         40
        .size:           2
        .value_kind:     hidden_group_size_z
      - .offset:         42
        .size:           2
        .value_kind:     hidden_remainder_x
      - .offset:         44
        .size:           2
        .value_kind:     hidden_remainder_y
      - .offset:         46
        .size:           2
        .value_kind:     hidden_remainder_z
      - .offset:         64
        .size:           8
        .value_kind:     hidden_global_offset_x
      - .offset:         72
        .size:           8
        .value_kind:     hidden_global_offset_y
      - .offset:         80
        .size:           8
        .value_kind:     hidden_global_offset_z
      - .offset:         88
        .size:           2
        .value_kind:     hidden_grid_dims
    .group_segment_fixed_size: 120
    .kernarg_segment_align: 8
    .kernarg_segment_size: 280
    .language:       OpenCL C
    .language_version:
      - 2
      - 0
    .max_flat_workgroup_size: 30
    .name:           _Z33tail_segmented_warp_reduce_kernelIihLj30ELj15EENSt9enable_ifIXsr10test_utilsE35device_test_enabled_for_warp_size_vIXT2_EEEvE4typeEPT_PT0_S4_
    .private_segment_fixed_size: 0
    .sgpr_count:     18
    .sgpr_spill_count: 0
    .symbol:         _Z33tail_segmented_warp_reduce_kernelIihLj30ELj15EENSt9enable_ifIXsr10test_utilsE35device_test_enabled_for_warp_size_vIXT2_EEEvE4typeEPT_PT0_S4_.kd
    .uniform_work_group_size: 1
    .uses_dynamic_stack: false
    .vgpr_count:     7
    .vgpr_spill_count: 0
    .wavefront_size: 32
    .workgroup_processor_mode: 1
  - .args:
      - .address_space:  global
        .offset:         0
        .size:           8
        .value_kind:     global_buffer
      - .address_space:  global
        .offset:         8
        .size:           8
        .value_kind:     global_buffer
      - .address_space:  global
        .offset:         16
        .size:           8
        .value_kind:     global_buffer
      - .offset:         24
        .size:           4
        .value_kind:     hidden_block_count_x
      - .offset:         28
        .size:           4
        .value_kind:     hidden_block_count_y
      - .offset:         32
        .size:           4
        .value_kind:     hidden_block_count_z
      - .offset:         36
        .size:           2
        .value_kind:     hidden_group_size_x
      - .offset:         38
        .size:           2
        .value_kind:     hidden_group_size_y
      - .offset:         40
        .size:           2
        .value_kind:     hidden_group_size_z
      - .offset:         42
        .size:           2
        .value_kind:     hidden_remainder_x
      - .offset:         44
        .size:           2
        .value_kind:     hidden_remainder_y
      - .offset:         46
        .size:           2
        .value_kind:     hidden_remainder_z
      - .offset:         64
        .size:           8
        .value_kind:     hidden_global_offset_x
      - .offset:         72
        .size:           8
        .value_kind:     hidden_global_offset_y
      - .offset:         80
        .size:           8
        .value_kind:     hidden_global_offset_z
      - .offset:         88
        .size:           2
        .value_kind:     hidden_grid_dims
    .group_segment_fixed_size: 240
    .kernarg_segment_align: 8
    .kernarg_segment_size: 280
    .language:       OpenCL C
    .language_version:
      - 2
      - 0
    .max_flat_workgroup_size: 60
    .name:           _Z33tail_segmented_warp_reduce_kernelIihLj60ELj15EENSt9enable_ifIXsr10test_utilsE35device_test_enabled_for_warp_size_vIXT2_EEEvE4typeEPT_PT0_S4_
    .private_segment_fixed_size: 0
    .sgpr_count:     18
    .sgpr_spill_count: 0
    .symbol:         _Z33tail_segmented_warp_reduce_kernelIihLj60ELj15EENSt9enable_ifIXsr10test_utilsE35device_test_enabled_for_warp_size_vIXT2_EEEvE4typeEPT_PT0_S4_.kd
    .uniform_work_group_size: 1
    .uses_dynamic_stack: false
    .vgpr_count:     7
    .vgpr_spill_count: 0
    .wavefront_size: 32
    .workgroup_processor_mode: 1
  - .args:
      - .address_space:  global
        .offset:         0
        .size:           8
        .value_kind:     global_buffer
      - .address_space:  global
        .offset:         8
        .size:           8
        .value_kind:     global_buffer
      - .address_space:  global
        .offset:         16
        .size:           8
        .value_kind:     global_buffer
      - .offset:         24
        .size:           4
        .value_kind:     hidden_block_count_x
      - .offset:         28
        .size:           4
        .value_kind:     hidden_block_count_y
      - .offset:         32
        .size:           4
        .value_kind:     hidden_block_count_z
      - .offset:         36
        .size:           2
        .value_kind:     hidden_group_size_x
      - .offset:         38
        .size:           2
        .value_kind:     hidden_group_size_y
      - .offset:         40
        .size:           2
        .value_kind:     hidden_group_size_z
      - .offset:         42
        .size:           2
        .value_kind:     hidden_remainder_x
      - .offset:         44
        .size:           2
        .value_kind:     hidden_remainder_y
      - .offset:         46
        .size:           2
        .value_kind:     hidden_remainder_z
      - .offset:         64
        .size:           8
        .value_kind:     hidden_global_offset_x
      - .offset:         72
        .size:           8
        .value_kind:     hidden_global_offset_y
      - .offset:         80
        .size:           8
        .value_kind:     hidden_global_offset_z
      - .offset:         88
        .size:           2
        .value_kind:     hidden_grid_dims
    .group_segment_fixed_size: 112
    .kernarg_segment_align: 8
    .kernarg_segment_size: 280
    .language:       OpenCL C
    .language_version:
      - 2
      - 0
    .max_flat_workgroup_size: 28
    .name:           _Z33tail_segmented_warp_reduce_kernelIihLj28ELj7EENSt9enable_ifIXsr10test_utilsE35device_test_enabled_for_warp_size_vIXT2_EEEvE4typeEPT_PT0_S4_
    .private_segment_fixed_size: 0
    .sgpr_count:     18
    .sgpr_spill_count: 0
    .symbol:         _Z33tail_segmented_warp_reduce_kernelIihLj28ELj7EENSt9enable_ifIXsr10test_utilsE35device_test_enabled_for_warp_size_vIXT2_EEEvE4typeEPT_PT0_S4_.kd
    .uniform_work_group_size: 1
    .uses_dynamic_stack: false
    .vgpr_count:     7
    .vgpr_spill_count: 0
    .wavefront_size: 32
    .workgroup_processor_mode: 1
  - .args:
      - .address_space:  global
        .offset:         0
        .size:           8
        .value_kind:     global_buffer
      - .address_space:  global
        .offset:         8
        .size:           8
        .value_kind:     global_buffer
      - .address_space:  global
        .offset:         16
        .size:           8
        .value_kind:     global_buffer
      - .offset:         24
        .size:           4
        .value_kind:     hidden_block_count_x
      - .offset:         28
        .size:           4
        .value_kind:     hidden_block_count_y
      - .offset:         32
        .size:           4
        .value_kind:     hidden_block_count_z
      - .offset:         36
        .size:           2
        .value_kind:     hidden_group_size_x
      - .offset:         38
        .size:           2
        .value_kind:     hidden_group_size_y
      - .offset:         40
        .size:           2
        .value_kind:     hidden_group_size_z
      - .offset:         42
        .size:           2
        .value_kind:     hidden_remainder_x
      - .offset:         44
        .size:           2
        .value_kind:     hidden_remainder_y
      - .offset:         46
        .size:           2
        .value_kind:     hidden_remainder_z
      - .offset:         64
        .size:           8
        .value_kind:     hidden_global_offset_x
      - .offset:         72
        .size:           8
        .value_kind:     hidden_global_offset_y
      - .offset:         80
        .size:           8
        .value_kind:     hidden_global_offset_z
      - .offset:         88
        .size:           2
        .value_kind:     hidden_grid_dims
    .group_segment_fixed_size: 252
    .kernarg_segment_align: 8
    .kernarg_segment_size: 280
    .language:       OpenCL C
    .language_version:
      - 2
      - 0
    .max_flat_workgroup_size: 63
    .name:           _Z33tail_segmented_warp_reduce_kernelIihLj63ELj7EENSt9enable_ifIXsr10test_utilsE35device_test_enabled_for_warp_size_vIXT2_EEEvE4typeEPT_PT0_S4_
    .private_segment_fixed_size: 0
    .sgpr_count:     18
    .sgpr_spill_count: 0
    .symbol:         _Z33tail_segmented_warp_reduce_kernelIihLj63ELj7EENSt9enable_ifIXsr10test_utilsE35device_test_enabled_for_warp_size_vIXT2_EEEvE4typeEPT_PT0_S4_.kd
    .uniform_work_group_size: 1
    .uses_dynamic_stack: false
    .vgpr_count:     7
    .vgpr_spill_count: 0
    .wavefront_size: 32
    .workgroup_processor_mode: 1
  - .args:
      - .address_space:  global
        .offset:         0
        .size:           8
        .value_kind:     global_buffer
      - .address_space:  global
        .offset:         8
        .size:           8
        .value_kind:     global_buffer
      - .address_space:  global
        .offset:         16
        .size:           8
        .value_kind:     global_buffer
      - .offset:         24
        .size:           4
        .value_kind:     hidden_block_count_x
      - .offset:         28
        .size:           4
        .value_kind:     hidden_block_count_y
      - .offset:         32
        .size:           4
        .value_kind:     hidden_block_count_z
      - .offset:         36
        .size:           2
        .value_kind:     hidden_group_size_x
      - .offset:         38
        .size:           2
        .value_kind:     hidden_group_size_y
      - .offset:         40
        .size:           2
        .value_kind:     hidden_group_size_z
      - .offset:         42
        .size:           2
        .value_kind:     hidden_remainder_x
      - .offset:         44
        .size:           2
        .value_kind:     hidden_remainder_y
      - .offset:         46
        .size:           2
        .value_kind:     hidden_remainder_z
      - .offset:         64
        .size:           8
        .value_kind:     hidden_global_offset_x
      - .offset:         72
        .size:           8
        .value_kind:     hidden_global_offset_y
      - .offset:         80
        .size:           8
        .value_kind:     hidden_global_offset_z
      - .offset:         88
        .size:           2
        .value_kind:     hidden_grid_dims
    .group_segment_fixed_size: 120
    .kernarg_segment_align: 8
    .kernarg_segment_size: 280
    .language:       OpenCL C
    .language_version:
      - 2
      - 0
    .max_flat_workgroup_size: 30
    .name:           _Z33tail_segmented_warp_reduce_kernelIihLj30ELj3EENSt9enable_ifIXsr10test_utilsE35device_test_enabled_for_warp_size_vIXT2_EEEvE4typeEPT_PT0_S4_
    .private_segment_fixed_size: 0
    .sgpr_count:     18
    .sgpr_spill_count: 0
    .symbol:         _Z33tail_segmented_warp_reduce_kernelIihLj30ELj3EENSt9enable_ifIXsr10test_utilsE35device_test_enabled_for_warp_size_vIXT2_EEEvE4typeEPT_PT0_S4_.kd
    .uniform_work_group_size: 1
    .uses_dynamic_stack: false
    .vgpr_count:     7
    .vgpr_spill_count: 0
    .wavefront_size: 32
    .workgroup_processor_mode: 1
  - .args:
      - .address_space:  global
        .offset:         0
        .size:           8
        .value_kind:     global_buffer
      - .address_space:  global
        .offset:         8
        .size:           8
        .value_kind:     global_buffer
      - .address_space:  global
        .offset:         16
        .size:           8
        .value_kind:     global_buffer
      - .offset:         24
        .size:           4
        .value_kind:     hidden_block_count_x
      - .offset:         28
        .size:           4
        .value_kind:     hidden_block_count_y
      - .offset:         32
        .size:           4
        .value_kind:     hidden_block_count_z
      - .offset:         36
        .size:           2
        .value_kind:     hidden_group_size_x
      - .offset:         38
        .size:           2
        .value_kind:     hidden_group_size_y
      - .offset:         40
        .size:           2
        .value_kind:     hidden_group_size_z
      - .offset:         42
        .size:           2
        .value_kind:     hidden_remainder_x
      - .offset:         44
        .size:           2
        .value_kind:     hidden_remainder_y
      - .offset:         46
        .size:           2
        .value_kind:     hidden_remainder_z
      - .offset:         64
        .size:           8
        .value_kind:     hidden_global_offset_x
      - .offset:         72
        .size:           8
        .value_kind:     hidden_global_offset_y
      - .offset:         80
        .size:           8
        .value_kind:     hidden_global_offset_z
      - .offset:         88
        .size:           2
        .value_kind:     hidden_grid_dims
    .group_segment_fixed_size: 252
    .kernarg_segment_align: 8
    .kernarg_segment_size: 280
    .language:       OpenCL C
    .language_version:
      - 2
      - 0
    .max_flat_workgroup_size: 63
    .name:           _Z33tail_segmented_warp_reduce_kernelIihLj63ELj3EENSt9enable_ifIXsr10test_utilsE35device_test_enabled_for_warp_size_vIXT2_EEEvE4typeEPT_PT0_S4_
    .private_segment_fixed_size: 0
    .sgpr_count:     18
    .sgpr_spill_count: 0
    .symbol:         _Z33tail_segmented_warp_reduce_kernelIihLj63ELj3EENSt9enable_ifIXsr10test_utilsE35device_test_enabled_for_warp_size_vIXT2_EEEvE4typeEPT_PT0_S4_.kd
    .uniform_work_group_size: 1
    .uses_dynamic_stack: false
    .vgpr_count:     7
    .vgpr_spill_count: 0
    .wavefront_size: 32
    .workgroup_processor_mode: 1
  - .args:
      - .address_space:  global
        .offset:         0
        .size:           8
        .value_kind:     global_buffer
      - .address_space:  global
        .offset:         8
        .size:           8
        .value_kind:     global_buffer
      - .address_space:  global
        .offset:         16
        .size:           8
        .value_kind:     global_buffer
    .group_segment_fixed_size: 0
    .kernarg_segment_align: 8
    .kernarg_segment_size: 24
    .language:       OpenCL C
    .language_version:
      - 2
      - 0
    .max_flat_workgroup_size: 256
    .name:           _Z33tail_segmented_warp_reduce_kernelI12hip_bfloat16hLj256ELj64EENSt9enable_ifIXntsr10test_utilsE35device_test_enabled_for_warp_size_vIXT2_EEEvE4typeEPT_PT0_S5_
    .private_segment_fixed_size: 0
    .sgpr_count:     0
    .sgpr_spill_count: 0
    .symbol:         _Z33tail_segmented_warp_reduce_kernelI12hip_bfloat16hLj256ELj64EENSt9enable_ifIXntsr10test_utilsE35device_test_enabled_for_warp_size_vIXT2_EEEvE4typeEPT_PT0_S5_.kd
    .uniform_work_group_size: 1
    .uses_dynamic_stack: false
    .vgpr_count:     0
    .vgpr_spill_count: 0
    .wavefront_size: 32
    .workgroup_processor_mode: 1
  - .args:
      - .address_space:  global
        .offset:         0
        .size:           8
        .value_kind:     global_buffer
      - .address_space:  global
        .offset:         8
        .size:           8
        .value_kind:     global_buffer
      - .address_space:  global
        .offset:         16
        .size:           8
        .value_kind:     global_buffer
      - .offset:         24
        .size:           4
        .value_kind:     hidden_block_count_x
      - .offset:         28
        .size:           4
        .value_kind:     hidden_block_count_y
      - .offset:         32
        .size:           4
        .value_kind:     hidden_block_count_z
      - .offset:         36
        .size:           2
        .value_kind:     hidden_group_size_x
      - .offset:         38
        .size:           2
        .value_kind:     hidden_group_size_y
      - .offset:         40
        .size:           2
        .value_kind:     hidden_group_size_z
      - .offset:         42
        .size:           2
        .value_kind:     hidden_remainder_x
      - .offset:         44
        .size:           2
        .value_kind:     hidden_remainder_y
      - .offset:         46
        .size:           2
        .value_kind:     hidden_remainder_z
      - .offset:         64
        .size:           8
        .value_kind:     hidden_global_offset_x
      - .offset:         72
        .size:           8
        .value_kind:     hidden_global_offset_y
      - .offset:         80
        .size:           8
        .value_kind:     hidden_global_offset_z
      - .offset:         88
        .size:           2
        .value_kind:     hidden_grid_dims
    .group_segment_fixed_size: 0
    .kernarg_segment_align: 8
    .kernarg_segment_size: 280
    .language:       OpenCL C
    .language_version:
      - 2
      - 0
    .max_flat_workgroup_size: 128
    .name:           _Z33tail_segmented_warp_reduce_kernelI12hip_bfloat16hLj128ELj32EENSt9enable_ifIXsr10test_utilsE35device_test_enabled_for_warp_size_vIXT2_EEEvE4typeEPT_PT0_S5_
    .private_segment_fixed_size: 0
    .sgpr_count:     18
    .sgpr_spill_count: 0
    .symbol:         _Z33tail_segmented_warp_reduce_kernelI12hip_bfloat16hLj128ELj32EENSt9enable_ifIXsr10test_utilsE35device_test_enabled_for_warp_size_vIXT2_EEEvE4typeEPT_PT0_S5_.kd
    .uniform_work_group_size: 1
    .uses_dynamic_stack: false
    .vgpr_count:     8
    .vgpr_spill_count: 0
    .wavefront_size: 32
    .workgroup_processor_mode: 1
  - .args:
      - .address_space:  global
        .offset:         0
        .size:           8
        .value_kind:     global_buffer
      - .address_space:  global
        .offset:         8
        .size:           8
        .value_kind:     global_buffer
      - .address_space:  global
        .offset:         16
        .size:           8
        .value_kind:     global_buffer
      - .offset:         24
        .size:           4
        .value_kind:     hidden_block_count_x
      - .offset:         28
        .size:           4
        .value_kind:     hidden_block_count_y
      - .offset:         32
        .size:           4
        .value_kind:     hidden_block_count_z
      - .offset:         36
        .size:           2
        .value_kind:     hidden_group_size_x
      - .offset:         38
        .size:           2
        .value_kind:     hidden_group_size_y
      - .offset:         40
        .size:           2
        .value_kind:     hidden_group_size_z
      - .offset:         42
        .size:           2
        .value_kind:     hidden_remainder_x
      - .offset:         44
        .size:           2
        .value_kind:     hidden_remainder_y
      - .offset:         46
        .size:           2
        .value_kind:     hidden_remainder_z
      - .offset:         64
        .size:           8
        .value_kind:     hidden_global_offset_x
      - .offset:         72
        .size:           8
        .value_kind:     hidden_global_offset_y
      - .offset:         80
        .size:           8
        .value_kind:     hidden_global_offset_z
      - .offset:         88
        .size:           2
        .value_kind:     hidden_grid_dims
    .group_segment_fixed_size: 0
    .kernarg_segment_align: 8
    .kernarg_segment_size: 280
    .language:       OpenCL C
    .language_version:
      - 2
      - 0
    .max_flat_workgroup_size: 64
    .name:           _Z33tail_segmented_warp_reduce_kernelI12hip_bfloat16hLj64ELj16EENSt9enable_ifIXsr10test_utilsE35device_test_enabled_for_warp_size_vIXT2_EEEvE4typeEPT_PT0_S5_
    .private_segment_fixed_size: 0
    .sgpr_count:     18
    .sgpr_spill_count: 0
    .symbol:         _Z33tail_segmented_warp_reduce_kernelI12hip_bfloat16hLj64ELj16EENSt9enable_ifIXsr10test_utilsE35device_test_enabled_for_warp_size_vIXT2_EEEvE4typeEPT_PT0_S5_.kd
    .uniform_work_group_size: 1
    .uses_dynamic_stack: false
    .vgpr_count:     9
    .vgpr_spill_count: 0
    .wavefront_size: 32
    .workgroup_processor_mode: 1
  - .args:
      - .address_space:  global
        .offset:         0
        .size:           8
        .value_kind:     global_buffer
      - .address_space:  global
        .offset:         8
        .size:           8
        .value_kind:     global_buffer
      - .address_space:  global
        .offset:         16
        .size:           8
        .value_kind:     global_buffer
      - .offset:         24
        .size:           4
        .value_kind:     hidden_block_count_x
      - .offset:         28
        .size:           4
        .value_kind:     hidden_block_count_y
      - .offset:         32
        .size:           4
        .value_kind:     hidden_block_count_z
      - .offset:         36
        .size:           2
        .value_kind:     hidden_group_size_x
      - .offset:         38
        .size:           2
        .value_kind:     hidden_group_size_y
      - .offset:         40
        .size:           2
        .value_kind:     hidden_group_size_z
      - .offset:         42
        .size:           2
        .value_kind:     hidden_remainder_x
      - .offset:         44
        .size:           2
        .value_kind:     hidden_remainder_y
      - .offset:         46
        .size:           2
        .value_kind:     hidden_remainder_z
      - .offset:         64
        .size:           8
        .value_kind:     hidden_global_offset_x
      - .offset:         72
        .size:           8
        .value_kind:     hidden_global_offset_y
      - .offset:         80
        .size:           8
        .value_kind:     hidden_global_offset_z
      - .offset:         88
        .size:           2
        .value_kind:     hidden_grid_dims
    .group_segment_fixed_size: 0
    .kernarg_segment_align: 8
    .kernarg_segment_size: 280
    .language:       OpenCL C
    .language_version:
      - 2
      - 0
    .max_flat_workgroup_size: 32
    .name:           _Z33tail_segmented_warp_reduce_kernelI12hip_bfloat16hLj32ELj8EENSt9enable_ifIXsr10test_utilsE35device_test_enabled_for_warp_size_vIXT2_EEEvE4typeEPT_PT0_S5_
    .private_segment_fixed_size: 0
    .sgpr_count:     18
    .sgpr_spill_count: 0
    .symbol:         _Z33tail_segmented_warp_reduce_kernelI12hip_bfloat16hLj32ELj8EENSt9enable_ifIXsr10test_utilsE35device_test_enabled_for_warp_size_vIXT2_EEEvE4typeEPT_PT0_S5_.kd
    .uniform_work_group_size: 1
    .uses_dynamic_stack: false
    .vgpr_count:     9
    .vgpr_spill_count: 0
    .wavefront_size: 32
    .workgroup_processor_mode: 1
  - .args:
      - .address_space:  global
        .offset:         0
        .size:           8
        .value_kind:     global_buffer
      - .address_space:  global
        .offset:         8
        .size:           8
        .value_kind:     global_buffer
      - .address_space:  global
        .offset:         16
        .size:           8
        .value_kind:     global_buffer
      - .offset:         24
        .size:           4
        .value_kind:     hidden_block_count_x
      - .offset:         28
        .size:           4
        .value_kind:     hidden_block_count_y
      - .offset:         32
        .size:           4
        .value_kind:     hidden_block_count_z
      - .offset:         36
        .size:           2
        .value_kind:     hidden_group_size_x
      - .offset:         38
        .size:           2
        .value_kind:     hidden_group_size_y
      - .offset:         40
        .size:           2
        .value_kind:     hidden_group_size_z
      - .offset:         42
        .size:           2
        .value_kind:     hidden_remainder_x
      - .offset:         44
        .size:           2
        .value_kind:     hidden_remainder_y
      - .offset:         46
        .size:           2
        .value_kind:     hidden_remainder_z
      - .offset:         64
        .size:           8
        .value_kind:     hidden_global_offset_x
      - .offset:         72
        .size:           8
        .value_kind:     hidden_global_offset_y
      - .offset:         80
        .size:           8
        .value_kind:     hidden_global_offset_z
      - .offset:         88
        .size:           2
        .value_kind:     hidden_grid_dims
    .group_segment_fixed_size: 0
    .kernarg_segment_align: 8
    .kernarg_segment_size: 280
    .language:       OpenCL C
    .language_version:
      - 2
      - 0
    .max_flat_workgroup_size: 64
    .name:           _Z33tail_segmented_warp_reduce_kernelI12hip_bfloat16hLj64ELj8EENSt9enable_ifIXsr10test_utilsE35device_test_enabled_for_warp_size_vIXT2_EEEvE4typeEPT_PT0_S5_
    .private_segment_fixed_size: 0
    .sgpr_count:     18
    .sgpr_spill_count: 0
    .symbol:         _Z33tail_segmented_warp_reduce_kernelI12hip_bfloat16hLj64ELj8EENSt9enable_ifIXsr10test_utilsE35device_test_enabled_for_warp_size_vIXT2_EEEvE4typeEPT_PT0_S5_.kd
    .uniform_work_group_size: 1
    .uses_dynamic_stack: false
    .vgpr_count:     9
    .vgpr_spill_count: 0
    .wavefront_size: 32
    .workgroup_processor_mode: 1
  - .args:
      - .address_space:  global
        .offset:         0
        .size:           8
        .value_kind:     global_buffer
      - .address_space:  global
        .offset:         8
        .size:           8
        .value_kind:     global_buffer
      - .address_space:  global
        .offset:         16
        .size:           8
        .value_kind:     global_buffer
      - .offset:         24
        .size:           4
        .value_kind:     hidden_block_count_x
      - .offset:         28
        .size:           4
        .value_kind:     hidden_block_count_y
      - .offset:         32
        .size:           4
        .value_kind:     hidden_block_count_z
      - .offset:         36
        .size:           2
        .value_kind:     hidden_group_size_x
      - .offset:         38
        .size:           2
        .value_kind:     hidden_group_size_y
      - .offset:         40
        .size:           2
        .value_kind:     hidden_group_size_z
      - .offset:         42
        .size:           2
        .value_kind:     hidden_remainder_x
      - .offset:         44
        .size:           2
        .value_kind:     hidden_remainder_y
      - .offset:         46
        .size:           2
        .value_kind:     hidden_remainder_z
      - .offset:         64
        .size:           8
        .value_kind:     hidden_global_offset_x
      - .offset:         72
        .size:           8
        .value_kind:     hidden_global_offset_y
      - .offset:         80
        .size:           8
        .value_kind:     hidden_global_offset_z
      - .offset:         88
        .size:           2
        .value_kind:     hidden_grid_dims
    .group_segment_fixed_size: 0
    .kernarg_segment_align: 8
    .kernarg_segment_size: 280
    .language:       OpenCL C
    .language_version:
      - 2
      - 0
    .max_flat_workgroup_size: 32
    .name:           _Z33tail_segmented_warp_reduce_kernelI12hip_bfloat16hLj32ELj4EENSt9enable_ifIXsr10test_utilsE35device_test_enabled_for_warp_size_vIXT2_EEEvE4typeEPT_PT0_S5_
    .private_segment_fixed_size: 0
    .sgpr_count:     18
    .sgpr_spill_count: 0
    .symbol:         _Z33tail_segmented_warp_reduce_kernelI12hip_bfloat16hLj32ELj4EENSt9enable_ifIXsr10test_utilsE35device_test_enabled_for_warp_size_vIXT2_EEEvE4typeEPT_PT0_S5_.kd
    .uniform_work_group_size: 1
    .uses_dynamic_stack: false
    .vgpr_count:     9
    .vgpr_spill_count: 0
    .wavefront_size: 32
    .workgroup_processor_mode: 1
  - .args:
      - .address_space:  global
        .offset:         0
        .size:           8
        .value_kind:     global_buffer
      - .address_space:  global
        .offset:         8
        .size:           8
        .value_kind:     global_buffer
      - .address_space:  global
        .offset:         16
        .size:           8
        .value_kind:     global_buffer
      - .offset:         24
        .size:           4
        .value_kind:     hidden_block_count_x
      - .offset:         28
        .size:           4
        .value_kind:     hidden_block_count_y
      - .offset:         32
        .size:           4
        .value_kind:     hidden_block_count_z
      - .offset:         36
        .size:           2
        .value_kind:     hidden_group_size_x
      - .offset:         38
        .size:           2
        .value_kind:     hidden_group_size_y
      - .offset:         40
        .size:           2
        .value_kind:     hidden_group_size_z
      - .offset:         42
        .size:           2
        .value_kind:     hidden_remainder_x
      - .offset:         44
        .size:           2
        .value_kind:     hidden_remainder_y
      - .offset:         46
        .size:           2
        .value_kind:     hidden_remainder_z
      - .offset:         64
        .size:           8
        .value_kind:     hidden_global_offset_x
      - .offset:         72
        .size:           8
        .value_kind:     hidden_global_offset_y
      - .offset:         80
        .size:           8
        .value_kind:     hidden_global_offset_z
      - .offset:         88
        .size:           2
        .value_kind:     hidden_grid_dims
    .group_segment_fixed_size: 0
    .kernarg_segment_align: 8
    .kernarg_segment_size: 280
    .language:       OpenCL C
    .language_version:
      - 2
      - 0
    .max_flat_workgroup_size: 64
    .name:           _Z33tail_segmented_warp_reduce_kernelI12hip_bfloat16hLj64ELj4EENSt9enable_ifIXsr10test_utilsE35device_test_enabled_for_warp_size_vIXT2_EEEvE4typeEPT_PT0_S5_
    .private_segment_fixed_size: 0
    .sgpr_count:     18
    .sgpr_spill_count: 0
    .symbol:         _Z33tail_segmented_warp_reduce_kernelI12hip_bfloat16hLj64ELj4EENSt9enable_ifIXsr10test_utilsE35device_test_enabled_for_warp_size_vIXT2_EEEvE4typeEPT_PT0_S5_.kd
    .uniform_work_group_size: 1
    .uses_dynamic_stack: false
    .vgpr_count:     9
    .vgpr_spill_count: 0
    .wavefront_size: 32
    .workgroup_processor_mode: 1
  - .args:
      - .address_space:  global
        .offset:         0
        .size:           8
        .value_kind:     global_buffer
      - .address_space:  global
        .offset:         8
        .size:           8
        .value_kind:     global_buffer
      - .address_space:  global
        .offset:         16
        .size:           8
        .value_kind:     global_buffer
      - .offset:         24
        .size:           4
        .value_kind:     hidden_block_count_x
      - .offset:         28
        .size:           4
        .value_kind:     hidden_block_count_y
      - .offset:         32
        .size:           4
        .value_kind:     hidden_block_count_z
      - .offset:         36
        .size:           2
        .value_kind:     hidden_group_size_x
      - .offset:         38
        .size:           2
        .value_kind:     hidden_group_size_y
      - .offset:         40
        .size:           2
        .value_kind:     hidden_group_size_z
      - .offset:         42
        .size:           2
        .value_kind:     hidden_remainder_x
      - .offset:         44
        .size:           2
        .value_kind:     hidden_remainder_y
      - .offset:         46
        .size:           2
        .value_kind:     hidden_remainder_z
      - .offset:         64
        .size:           8
        .value_kind:     hidden_global_offset_x
      - .offset:         72
        .size:           8
        .value_kind:     hidden_global_offset_y
      - .offset:         80
        .size:           8
        .value_kind:     hidden_global_offset_z
      - .offset:         88
        .size:           2
        .value_kind:     hidden_grid_dims
    .group_segment_fixed_size: 0
    .kernarg_segment_align: 8
    .kernarg_segment_size: 280
    .language:       OpenCL C
    .language_version:
      - 2
      - 0
    .max_flat_workgroup_size: 32
    .name:           _Z33tail_segmented_warp_reduce_kernelI12hip_bfloat16hLj32ELj2EENSt9enable_ifIXsr10test_utilsE35device_test_enabled_for_warp_size_vIXT2_EEEvE4typeEPT_PT0_S5_
    .private_segment_fixed_size: 0
    .sgpr_count:     18
    .sgpr_spill_count: 0
    .symbol:         _Z33tail_segmented_warp_reduce_kernelI12hip_bfloat16hLj32ELj2EENSt9enable_ifIXsr10test_utilsE35device_test_enabled_for_warp_size_vIXT2_EEEvE4typeEPT_PT0_S5_.kd
    .uniform_work_group_size: 1
    .uses_dynamic_stack: false
    .vgpr_count:     8
    .vgpr_spill_count: 0
    .wavefront_size: 32
    .workgroup_processor_mode: 1
  - .args:
      - .address_space:  global
        .offset:         0
        .size:           8
        .value_kind:     global_buffer
      - .address_space:  global
        .offset:         8
        .size:           8
        .value_kind:     global_buffer
      - .address_space:  global
        .offset:         16
        .size:           8
        .value_kind:     global_buffer
      - .offset:         24
        .size:           4
        .value_kind:     hidden_block_count_x
      - .offset:         28
        .size:           4
        .value_kind:     hidden_block_count_y
      - .offset:         32
        .size:           4
        .value_kind:     hidden_block_count_z
      - .offset:         36
        .size:           2
        .value_kind:     hidden_group_size_x
      - .offset:         38
        .size:           2
        .value_kind:     hidden_group_size_y
      - .offset:         40
        .size:           2
        .value_kind:     hidden_group_size_z
      - .offset:         42
        .size:           2
        .value_kind:     hidden_remainder_x
      - .offset:         44
        .size:           2
        .value_kind:     hidden_remainder_y
      - .offset:         46
        .size:           2
        .value_kind:     hidden_remainder_z
      - .offset:         64
        .size:           8
        .value_kind:     hidden_global_offset_x
      - .offset:         72
        .size:           8
        .value_kind:     hidden_global_offset_y
      - .offset:         80
        .size:           8
        .value_kind:     hidden_global_offset_z
      - .offset:         88
        .size:           2
        .value_kind:     hidden_grid_dims
    .group_segment_fixed_size: 0
    .kernarg_segment_align: 8
    .kernarg_segment_size: 280
    .language:       OpenCL C
    .language_version:
      - 2
      - 0
    .max_flat_workgroup_size: 64
    .name:           _Z33tail_segmented_warp_reduce_kernelI12hip_bfloat16hLj64ELj2EENSt9enable_ifIXsr10test_utilsE35device_test_enabled_for_warp_size_vIXT2_EEEvE4typeEPT_PT0_S5_
    .private_segment_fixed_size: 0
    .sgpr_count:     18
    .sgpr_spill_count: 0
    .symbol:         _Z33tail_segmented_warp_reduce_kernelI12hip_bfloat16hLj64ELj2EENSt9enable_ifIXsr10test_utilsE35device_test_enabled_for_warp_size_vIXT2_EEEvE4typeEPT_PT0_S5_.kd
    .uniform_work_group_size: 1
    .uses_dynamic_stack: false
    .vgpr_count:     8
    .vgpr_spill_count: 0
    .wavefront_size: 32
    .workgroup_processor_mode: 1
  - .args:
      - .address_space:  global
        .offset:         0
        .size:           8
        .value_kind:     global_buffer
      - .address_space:  global
        .offset:         8
        .size:           8
        .value_kind:     global_buffer
      - .address_space:  global
        .offset:         16
        .size:           8
        .value_kind:     global_buffer
      - .offset:         24
        .size:           4
        .value_kind:     hidden_block_count_x
      - .offset:         28
        .size:           4
        .value_kind:     hidden_block_count_y
      - .offset:         32
        .size:           4
        .value_kind:     hidden_block_count_z
      - .offset:         36
        .size:           2
        .value_kind:     hidden_group_size_x
      - .offset:         38
        .size:           2
        .value_kind:     hidden_group_size_y
      - .offset:         40
        .size:           2
        .value_kind:     hidden_group_size_z
      - .offset:         42
        .size:           2
        .value_kind:     hidden_remainder_x
      - .offset:         44
        .size:           2
        .value_kind:     hidden_remainder_y
      - .offset:         46
        .size:           2
        .value_kind:     hidden_remainder_z
      - .offset:         64
        .size:           8
        .value_kind:     hidden_global_offset_x
      - .offset:         72
        .size:           8
        .value_kind:     hidden_global_offset_y
      - .offset:         80
        .size:           8
        .value_kind:     hidden_global_offset_z
      - .offset:         88
        .size:           2
        .value_kind:     hidden_grid_dims
    .group_segment_fixed_size: 0
    .kernarg_segment_align: 8
    .kernarg_segment_size: 280
    .language:       OpenCL C
    .language_version:
      - 2
      - 0
    .max_flat_workgroup_size: 32
    .name:           _Z33tail_segmented_warp_reduce_kernelI12hip_bfloat16hLj32ELj1EENSt9enable_ifIXsr10test_utilsE35device_test_enabled_for_warp_size_vIXT2_EEEvE4typeEPT_PT0_S5_
    .private_segment_fixed_size: 0
    .sgpr_count:     18
    .sgpr_spill_count: 0
    .symbol:         _Z33tail_segmented_warp_reduce_kernelI12hip_bfloat16hLj32ELj1EENSt9enable_ifIXsr10test_utilsE35device_test_enabled_for_warp_size_vIXT2_EEEvE4typeEPT_PT0_S5_.kd
    .uniform_work_group_size: 1
    .uses_dynamic_stack: false
    .vgpr_count:     4
    .vgpr_spill_count: 0
    .wavefront_size: 32
    .workgroup_processor_mode: 1
  - .args:
      - .address_space:  global
        .offset:         0
        .size:           8
        .value_kind:     global_buffer
      - .address_space:  global
        .offset:         8
        .size:           8
        .value_kind:     global_buffer
      - .address_space:  global
        .offset:         16
        .size:           8
        .value_kind:     global_buffer
      - .offset:         24
        .size:           4
        .value_kind:     hidden_block_count_x
      - .offset:         28
        .size:           4
        .value_kind:     hidden_block_count_y
      - .offset:         32
        .size:           4
        .value_kind:     hidden_block_count_z
      - .offset:         36
        .size:           2
        .value_kind:     hidden_group_size_x
      - .offset:         38
        .size:           2
        .value_kind:     hidden_group_size_y
      - .offset:         40
        .size:           2
        .value_kind:     hidden_group_size_z
      - .offset:         42
        .size:           2
        .value_kind:     hidden_remainder_x
      - .offset:         44
        .size:           2
        .value_kind:     hidden_remainder_y
      - .offset:         46
        .size:           2
        .value_kind:     hidden_remainder_z
      - .offset:         64
        .size:           8
        .value_kind:     hidden_global_offset_x
      - .offset:         72
        .size:           8
        .value_kind:     hidden_global_offset_y
      - .offset:         80
        .size:           8
        .value_kind:     hidden_global_offset_z
      - .offset:         88
        .size:           2
        .value_kind:     hidden_grid_dims
    .group_segment_fixed_size: 0
    .kernarg_segment_align: 8
    .kernarg_segment_size: 280
    .language:       OpenCL C
    .language_version:
      - 2
      - 0
    .max_flat_workgroup_size: 64
    .name:           _Z33tail_segmented_warp_reduce_kernelI12hip_bfloat16hLj64ELj1EENSt9enable_ifIXsr10test_utilsE35device_test_enabled_for_warp_size_vIXT2_EEEvE4typeEPT_PT0_S5_
    .private_segment_fixed_size: 0
    .sgpr_count:     18
    .sgpr_spill_count: 0
    .symbol:         _Z33tail_segmented_warp_reduce_kernelI12hip_bfloat16hLj64ELj1EENSt9enable_ifIXsr10test_utilsE35device_test_enabled_for_warp_size_vIXT2_EEEvE4typeEPT_PT0_S5_.kd
    .uniform_work_group_size: 1
    .uses_dynamic_stack: false
    .vgpr_count:     4
    .vgpr_spill_count: 0
    .wavefront_size: 32
    .workgroup_processor_mode: 1
  - .args:
      - .address_space:  global
        .offset:         0
        .size:           8
        .value_kind:     global_buffer
      - .address_space:  global
        .offset:         8
        .size:           8
        .value_kind:     global_buffer
      - .address_space:  global
        .offset:         16
        .size:           8
        .value_kind:     global_buffer
    .group_segment_fixed_size: 0
    .kernarg_segment_align: 8
    .kernarg_segment_size: 24
    .language:       OpenCL C
    .language_version:
      - 2
      - 0
    .max_flat_workgroup_size: 256
    .name:           _Z33tail_segmented_warp_reduce_kernelI6__halfhLj256ELj64EENSt9enable_ifIXntsr10test_utilsE35device_test_enabled_for_warp_size_vIXT2_EEEvE4typeEPT_PT0_S5_
    .private_segment_fixed_size: 0
    .sgpr_count:     0
    .sgpr_spill_count: 0
    .symbol:         _Z33tail_segmented_warp_reduce_kernelI6__halfhLj256ELj64EENSt9enable_ifIXntsr10test_utilsE35device_test_enabled_for_warp_size_vIXT2_EEEvE4typeEPT_PT0_S5_.kd
    .uniform_work_group_size: 1
    .uses_dynamic_stack: false
    .vgpr_count:     0
    .vgpr_spill_count: 0
    .wavefront_size: 32
    .workgroup_processor_mode: 1
  - .args:
      - .address_space:  global
        .offset:         0
        .size:           8
        .value_kind:     global_buffer
      - .address_space:  global
        .offset:         8
        .size:           8
        .value_kind:     global_buffer
      - .address_space:  global
        .offset:         16
        .size:           8
        .value_kind:     global_buffer
      - .offset:         24
        .size:           4
        .value_kind:     hidden_block_count_x
      - .offset:         28
        .size:           4
        .value_kind:     hidden_block_count_y
      - .offset:         32
        .size:           4
        .value_kind:     hidden_block_count_z
      - .offset:         36
        .size:           2
        .value_kind:     hidden_group_size_x
      - .offset:         38
        .size:           2
        .value_kind:     hidden_group_size_y
      - .offset:         40
        .size:           2
        .value_kind:     hidden_group_size_z
      - .offset:         42
        .size:           2
        .value_kind:     hidden_remainder_x
      - .offset:         44
        .size:           2
        .value_kind:     hidden_remainder_y
      - .offset:         46
        .size:           2
        .value_kind:     hidden_remainder_z
      - .offset:         64
        .size:           8
        .value_kind:     hidden_global_offset_x
      - .offset:         72
        .size:           8
        .value_kind:     hidden_global_offset_y
      - .offset:         80
        .size:           8
        .value_kind:     hidden_global_offset_z
      - .offset:         88
        .size:           2
        .value_kind:     hidden_grid_dims
    .group_segment_fixed_size: 0
    .kernarg_segment_align: 8
    .kernarg_segment_size: 280
    .language:       OpenCL C
    .language_version:
      - 2
      - 0
    .max_flat_workgroup_size: 128
    .name:           _Z33tail_segmented_warp_reduce_kernelI6__halfhLj128ELj32EENSt9enable_ifIXsr10test_utilsE35device_test_enabled_for_warp_size_vIXT2_EEEvE4typeEPT_PT0_S5_
    .private_segment_fixed_size: 0
    .sgpr_count:     18
    .sgpr_spill_count: 0
    .symbol:         _Z33tail_segmented_warp_reduce_kernelI6__halfhLj128ELj32EENSt9enable_ifIXsr10test_utilsE35device_test_enabled_for_warp_size_vIXT2_EEEvE4typeEPT_PT0_S5_.kd
    .uniform_work_group_size: 1
    .uses_dynamic_stack: false
    .vgpr_count:     14
    .vgpr_spill_count: 0
    .wavefront_size: 32
    .workgroup_processor_mode: 1
  - .args:
      - .address_space:  global
        .offset:         0
        .size:           8
        .value_kind:     global_buffer
      - .address_space:  global
        .offset:         8
        .size:           8
        .value_kind:     global_buffer
      - .address_space:  global
        .offset:         16
        .size:           8
        .value_kind:     global_buffer
      - .offset:         24
        .size:           4
        .value_kind:     hidden_block_count_x
      - .offset:         28
        .size:           4
        .value_kind:     hidden_block_count_y
      - .offset:         32
        .size:           4
        .value_kind:     hidden_block_count_z
      - .offset:         36
        .size:           2
        .value_kind:     hidden_group_size_x
      - .offset:         38
        .size:           2
        .value_kind:     hidden_group_size_y
      - .offset:         40
        .size:           2
        .value_kind:     hidden_group_size_z
      - .offset:         42
        .size:           2
        .value_kind:     hidden_remainder_x
      - .offset:         44
        .size:           2
        .value_kind:     hidden_remainder_y
      - .offset:         46
        .size:           2
        .value_kind:     hidden_remainder_z
      - .offset:         64
        .size:           8
        .value_kind:     hidden_global_offset_x
      - .offset:         72
        .size:           8
        .value_kind:     hidden_global_offset_y
      - .offset:         80
        .size:           8
        .value_kind:     hidden_global_offset_z
      - .offset:         88
        .size:           2
        .value_kind:     hidden_grid_dims
    .group_segment_fixed_size: 0
    .kernarg_segment_align: 8
    .kernarg_segment_size: 280
    .language:       OpenCL C
    .language_version:
      - 2
      - 0
    .max_flat_workgroup_size: 64
    .name:           _Z33tail_segmented_warp_reduce_kernelI6__halfhLj64ELj16EENSt9enable_ifIXsr10test_utilsE35device_test_enabled_for_warp_size_vIXT2_EEEvE4typeEPT_PT0_S5_
    .private_segment_fixed_size: 0
    .sgpr_count:     18
    .sgpr_spill_count: 0
    .symbol:         _Z33tail_segmented_warp_reduce_kernelI6__halfhLj64ELj16EENSt9enable_ifIXsr10test_utilsE35device_test_enabled_for_warp_size_vIXT2_EEEvE4typeEPT_PT0_S5_.kd
    .uniform_work_group_size: 1
    .uses_dynamic_stack: false
    .vgpr_count:     14
    .vgpr_spill_count: 0
    .wavefront_size: 32
    .workgroup_processor_mode: 1
  - .args:
      - .address_space:  global
        .offset:         0
        .size:           8
        .value_kind:     global_buffer
      - .address_space:  global
        .offset:         8
        .size:           8
        .value_kind:     global_buffer
      - .address_space:  global
        .offset:         16
        .size:           8
        .value_kind:     global_buffer
      - .offset:         24
        .size:           4
        .value_kind:     hidden_block_count_x
      - .offset:         28
        .size:           4
        .value_kind:     hidden_block_count_y
      - .offset:         32
        .size:           4
        .value_kind:     hidden_block_count_z
      - .offset:         36
        .size:           2
        .value_kind:     hidden_group_size_x
      - .offset:         38
        .size:           2
        .value_kind:     hidden_group_size_y
      - .offset:         40
        .size:           2
        .value_kind:     hidden_group_size_z
      - .offset:         42
        .size:           2
        .value_kind:     hidden_remainder_x
      - .offset:         44
        .size:           2
        .value_kind:     hidden_remainder_y
      - .offset:         46
        .size:           2
        .value_kind:     hidden_remainder_z
      - .offset:         64
        .size:           8
        .value_kind:     hidden_global_offset_x
      - .offset:         72
        .size:           8
        .value_kind:     hidden_global_offset_y
      - .offset:         80
        .size:           8
        .value_kind:     hidden_global_offset_z
      - .offset:         88
        .size:           2
        .value_kind:     hidden_grid_dims
    .group_segment_fixed_size: 0
    .kernarg_segment_align: 8
    .kernarg_segment_size: 280
    .language:       OpenCL C
    .language_version:
      - 2
      - 0
    .max_flat_workgroup_size: 32
    .name:           _Z33tail_segmented_warp_reduce_kernelI6__halfhLj32ELj8EENSt9enable_ifIXsr10test_utilsE35device_test_enabled_for_warp_size_vIXT2_EEEvE4typeEPT_PT0_S5_
    .private_segment_fixed_size: 0
    .sgpr_count:     18
    .sgpr_spill_count: 0
    .symbol:         _Z33tail_segmented_warp_reduce_kernelI6__halfhLj32ELj8EENSt9enable_ifIXsr10test_utilsE35device_test_enabled_for_warp_size_vIXT2_EEEvE4typeEPT_PT0_S5_.kd
    .uniform_work_group_size: 1
    .uses_dynamic_stack: false
    .vgpr_count:     13
    .vgpr_spill_count: 0
    .wavefront_size: 32
    .workgroup_processor_mode: 1
  - .args:
      - .address_space:  global
        .offset:         0
        .size:           8
        .value_kind:     global_buffer
      - .address_space:  global
        .offset:         8
        .size:           8
        .value_kind:     global_buffer
      - .address_space:  global
        .offset:         16
        .size:           8
        .value_kind:     global_buffer
      - .offset:         24
        .size:           4
        .value_kind:     hidden_block_count_x
      - .offset:         28
        .size:           4
        .value_kind:     hidden_block_count_y
      - .offset:         32
        .size:           4
        .value_kind:     hidden_block_count_z
      - .offset:         36
        .size:           2
        .value_kind:     hidden_group_size_x
      - .offset:         38
        .size:           2
        .value_kind:     hidden_group_size_y
      - .offset:         40
        .size:           2
        .value_kind:     hidden_group_size_z
      - .offset:         42
        .size:           2
        .value_kind:     hidden_remainder_x
      - .offset:         44
        .size:           2
        .value_kind:     hidden_remainder_y
      - .offset:         46
        .size:           2
        .value_kind:     hidden_remainder_z
      - .offset:         64
        .size:           8
        .value_kind:     hidden_global_offset_x
      - .offset:         72
        .size:           8
        .value_kind:     hidden_global_offset_y
      - .offset:         80
        .size:           8
        .value_kind:     hidden_global_offset_z
      - .offset:         88
        .size:           2
        .value_kind:     hidden_grid_dims
    .group_segment_fixed_size: 0
    .kernarg_segment_align: 8
    .kernarg_segment_size: 280
    .language:       OpenCL C
    .language_version:
      - 2
      - 0
    .max_flat_workgroup_size: 64
    .name:           _Z33tail_segmented_warp_reduce_kernelI6__halfhLj64ELj8EENSt9enable_ifIXsr10test_utilsE35device_test_enabled_for_warp_size_vIXT2_EEEvE4typeEPT_PT0_S5_
    .private_segment_fixed_size: 0
    .sgpr_count:     18
    .sgpr_spill_count: 0
    .symbol:         _Z33tail_segmented_warp_reduce_kernelI6__halfhLj64ELj8EENSt9enable_ifIXsr10test_utilsE35device_test_enabled_for_warp_size_vIXT2_EEEvE4typeEPT_PT0_S5_.kd
    .uniform_work_group_size: 1
    .uses_dynamic_stack: false
    .vgpr_count:     13
    .vgpr_spill_count: 0
    .wavefront_size: 32
    .workgroup_processor_mode: 1
  - .args:
      - .address_space:  global
        .offset:         0
        .size:           8
        .value_kind:     global_buffer
      - .address_space:  global
        .offset:         8
        .size:           8
        .value_kind:     global_buffer
      - .address_space:  global
        .offset:         16
        .size:           8
        .value_kind:     global_buffer
      - .offset:         24
        .size:           4
        .value_kind:     hidden_block_count_x
      - .offset:         28
        .size:           4
        .value_kind:     hidden_block_count_y
      - .offset:         32
        .size:           4
        .value_kind:     hidden_block_count_z
      - .offset:         36
        .size:           2
        .value_kind:     hidden_group_size_x
      - .offset:         38
        .size:           2
        .value_kind:     hidden_group_size_y
      - .offset:         40
        .size:           2
        .value_kind:     hidden_group_size_z
      - .offset:         42
        .size:           2
        .value_kind:     hidden_remainder_x
      - .offset:         44
        .size:           2
        .value_kind:     hidden_remainder_y
      - .offset:         46
        .size:           2
        .value_kind:     hidden_remainder_z
      - .offset:         64
        .size:           8
        .value_kind:     hidden_global_offset_x
      - .offset:         72
        .size:           8
        .value_kind:     hidden_global_offset_y
      - .offset:         80
        .size:           8
        .value_kind:     hidden_global_offset_z
      - .offset:         88
        .size:           2
        .value_kind:     hidden_grid_dims
    .group_segment_fixed_size: 0
    .kernarg_segment_align: 8
    .kernarg_segment_size: 280
    .language:       OpenCL C
    .language_version:
      - 2
      - 0
    .max_flat_workgroup_size: 32
    .name:           _Z33tail_segmented_warp_reduce_kernelI6__halfhLj32ELj4EENSt9enable_ifIXsr10test_utilsE35device_test_enabled_for_warp_size_vIXT2_EEEvE4typeEPT_PT0_S5_
    .private_segment_fixed_size: 0
    .sgpr_count:     18
    .sgpr_spill_count: 0
    .symbol:         _Z33tail_segmented_warp_reduce_kernelI6__halfhLj32ELj4EENSt9enable_ifIXsr10test_utilsE35device_test_enabled_for_warp_size_vIXT2_EEEvE4typeEPT_PT0_S5_.kd
    .uniform_work_group_size: 1
    .uses_dynamic_stack: false
    .vgpr_count:     10
    .vgpr_spill_count: 0
    .wavefront_size: 32
    .workgroup_processor_mode: 1
  - .args:
      - .address_space:  global
        .offset:         0
        .size:           8
        .value_kind:     global_buffer
      - .address_space:  global
        .offset:         8
        .size:           8
        .value_kind:     global_buffer
      - .address_space:  global
        .offset:         16
        .size:           8
        .value_kind:     global_buffer
      - .offset:         24
        .size:           4
        .value_kind:     hidden_block_count_x
      - .offset:         28
        .size:           4
        .value_kind:     hidden_block_count_y
      - .offset:         32
        .size:           4
        .value_kind:     hidden_block_count_z
      - .offset:         36
        .size:           2
        .value_kind:     hidden_group_size_x
      - .offset:         38
        .size:           2
        .value_kind:     hidden_group_size_y
      - .offset:         40
        .size:           2
        .value_kind:     hidden_group_size_z
      - .offset:         42
        .size:           2
        .value_kind:     hidden_remainder_x
      - .offset:         44
        .size:           2
        .value_kind:     hidden_remainder_y
      - .offset:         46
        .size:           2
        .value_kind:     hidden_remainder_z
      - .offset:         64
        .size:           8
        .value_kind:     hidden_global_offset_x
      - .offset:         72
        .size:           8
        .value_kind:     hidden_global_offset_y
      - .offset:         80
        .size:           8
        .value_kind:     hidden_global_offset_z
      - .offset:         88
        .size:           2
        .value_kind:     hidden_grid_dims
    .group_segment_fixed_size: 0
    .kernarg_segment_align: 8
    .kernarg_segment_size: 280
    .language:       OpenCL C
    .language_version:
      - 2
      - 0
    .max_flat_workgroup_size: 64
    .name:           _Z33tail_segmented_warp_reduce_kernelI6__halfhLj64ELj4EENSt9enable_ifIXsr10test_utilsE35device_test_enabled_for_warp_size_vIXT2_EEEvE4typeEPT_PT0_S5_
    .private_segment_fixed_size: 0
    .sgpr_count:     18
    .sgpr_spill_count: 0
    .symbol:         _Z33tail_segmented_warp_reduce_kernelI6__halfhLj64ELj4EENSt9enable_ifIXsr10test_utilsE35device_test_enabled_for_warp_size_vIXT2_EEEvE4typeEPT_PT0_S5_.kd
    .uniform_work_group_size: 1
    .uses_dynamic_stack: false
    .vgpr_count:     10
    .vgpr_spill_count: 0
    .wavefront_size: 32
    .workgroup_processor_mode: 1
  - .args:
      - .address_space:  global
        .offset:         0
        .size:           8
        .value_kind:     global_buffer
      - .address_space:  global
        .offset:         8
        .size:           8
        .value_kind:     global_buffer
      - .address_space:  global
        .offset:         16
        .size:           8
        .value_kind:     global_buffer
      - .offset:         24
        .size:           4
        .value_kind:     hidden_block_count_x
      - .offset:         28
        .size:           4
        .value_kind:     hidden_block_count_y
      - .offset:         32
        .size:           4
        .value_kind:     hidden_block_count_z
      - .offset:         36
        .size:           2
        .value_kind:     hidden_group_size_x
      - .offset:         38
        .size:           2
        .value_kind:     hidden_group_size_y
      - .offset:         40
        .size:           2
        .value_kind:     hidden_group_size_z
      - .offset:         42
        .size:           2
        .value_kind:     hidden_remainder_x
      - .offset:         44
        .size:           2
        .value_kind:     hidden_remainder_y
      - .offset:         46
        .size:           2
        .value_kind:     hidden_remainder_z
      - .offset:         64
        .size:           8
        .value_kind:     hidden_global_offset_x
      - .offset:         72
        .size:           8
        .value_kind:     hidden_global_offset_y
      - .offset:         80
        .size:           8
        .value_kind:     hidden_global_offset_z
      - .offset:         88
        .size:           2
        .value_kind:     hidden_grid_dims
    .group_segment_fixed_size: 0
    .kernarg_segment_align: 8
    .kernarg_segment_size: 280
    .language:       OpenCL C
    .language_version:
      - 2
      - 0
    .max_flat_workgroup_size: 32
    .name:           _Z33tail_segmented_warp_reduce_kernelI6__halfhLj32ELj2EENSt9enable_ifIXsr10test_utilsE35device_test_enabled_for_warp_size_vIXT2_EEEvE4typeEPT_PT0_S5_
    .private_segment_fixed_size: 0
    .sgpr_count:     18
    .sgpr_spill_count: 0
    .symbol:         _Z33tail_segmented_warp_reduce_kernelI6__halfhLj32ELj2EENSt9enable_ifIXsr10test_utilsE35device_test_enabled_for_warp_size_vIXT2_EEEvE4typeEPT_PT0_S5_.kd
    .uniform_work_group_size: 1
    .uses_dynamic_stack: false
    .vgpr_count:     8
    .vgpr_spill_count: 0
    .wavefront_size: 32
    .workgroup_processor_mode: 1
  - .args:
      - .address_space:  global
        .offset:         0
        .size:           8
        .value_kind:     global_buffer
      - .address_space:  global
        .offset:         8
        .size:           8
        .value_kind:     global_buffer
      - .address_space:  global
        .offset:         16
        .size:           8
        .value_kind:     global_buffer
      - .offset:         24
        .size:           4
        .value_kind:     hidden_block_count_x
      - .offset:         28
        .size:           4
        .value_kind:     hidden_block_count_y
      - .offset:         32
        .size:           4
        .value_kind:     hidden_block_count_z
      - .offset:         36
        .size:           2
        .value_kind:     hidden_group_size_x
      - .offset:         38
        .size:           2
        .value_kind:     hidden_group_size_y
      - .offset:         40
        .size:           2
        .value_kind:     hidden_group_size_z
      - .offset:         42
        .size:           2
        .value_kind:     hidden_remainder_x
      - .offset:         44
        .size:           2
        .value_kind:     hidden_remainder_y
      - .offset:         46
        .size:           2
        .value_kind:     hidden_remainder_z
      - .offset:         64
        .size:           8
        .value_kind:     hidden_global_offset_x
      - .offset:         72
        .size:           8
        .value_kind:     hidden_global_offset_y
      - .offset:         80
        .size:           8
        .value_kind:     hidden_global_offset_z
      - .offset:         88
        .size:           2
        .value_kind:     hidden_grid_dims
    .group_segment_fixed_size: 0
    .kernarg_segment_align: 8
    .kernarg_segment_size: 280
    .language:       OpenCL C
    .language_version:
      - 2
      - 0
    .max_flat_workgroup_size: 64
    .name:           _Z33tail_segmented_warp_reduce_kernelI6__halfhLj64ELj2EENSt9enable_ifIXsr10test_utilsE35device_test_enabled_for_warp_size_vIXT2_EEEvE4typeEPT_PT0_S5_
    .private_segment_fixed_size: 0
    .sgpr_count:     18
    .sgpr_spill_count: 0
    .symbol:         _Z33tail_segmented_warp_reduce_kernelI6__halfhLj64ELj2EENSt9enable_ifIXsr10test_utilsE35device_test_enabled_for_warp_size_vIXT2_EEEvE4typeEPT_PT0_S5_.kd
    .uniform_work_group_size: 1
    .uses_dynamic_stack: false
    .vgpr_count:     8
    .vgpr_spill_count: 0
    .wavefront_size: 32
    .workgroup_processor_mode: 1
  - .args:
      - .address_space:  global
        .offset:         0
        .size:           8
        .value_kind:     global_buffer
      - .address_space:  global
        .offset:         8
        .size:           8
        .value_kind:     global_buffer
      - .address_space:  global
        .offset:         16
        .size:           8
        .value_kind:     global_buffer
      - .offset:         24
        .size:           4
        .value_kind:     hidden_block_count_x
      - .offset:         28
        .size:           4
        .value_kind:     hidden_block_count_y
      - .offset:         32
        .size:           4
        .value_kind:     hidden_block_count_z
      - .offset:         36
        .size:           2
        .value_kind:     hidden_group_size_x
      - .offset:         38
        .size:           2
        .value_kind:     hidden_group_size_y
      - .offset:         40
        .size:           2
        .value_kind:     hidden_group_size_z
      - .offset:         42
        .size:           2
        .value_kind:     hidden_remainder_x
      - .offset:         44
        .size:           2
        .value_kind:     hidden_remainder_y
      - .offset:         46
        .size:           2
        .value_kind:     hidden_remainder_z
      - .offset:         64
        .size:           8
        .value_kind:     hidden_global_offset_x
      - .offset:         72
        .size:           8
        .value_kind:     hidden_global_offset_y
      - .offset:         80
        .size:           8
        .value_kind:     hidden_global_offset_z
      - .offset:         88
        .size:           2
        .value_kind:     hidden_grid_dims
    .group_segment_fixed_size: 0
    .kernarg_segment_align: 8
    .kernarg_segment_size: 280
    .language:       OpenCL C
    .language_version:
      - 2
      - 0
    .max_flat_workgroup_size: 32
    .name:           _Z33tail_segmented_warp_reduce_kernelI6__halfhLj32ELj1EENSt9enable_ifIXsr10test_utilsE35device_test_enabled_for_warp_size_vIXT2_EEEvE4typeEPT_PT0_S5_
    .private_segment_fixed_size: 0
    .sgpr_count:     18
    .sgpr_spill_count: 0
    .symbol:         _Z33tail_segmented_warp_reduce_kernelI6__halfhLj32ELj1EENSt9enable_ifIXsr10test_utilsE35device_test_enabled_for_warp_size_vIXT2_EEEvE4typeEPT_PT0_S5_.kd
    .uniform_work_group_size: 1
    .uses_dynamic_stack: false
    .vgpr_count:     4
    .vgpr_spill_count: 0
    .wavefront_size: 32
    .workgroup_processor_mode: 1
  - .args:
      - .address_space:  global
        .offset:         0
        .size:           8
        .value_kind:     global_buffer
      - .address_space:  global
        .offset:         8
        .size:           8
        .value_kind:     global_buffer
      - .address_space:  global
        .offset:         16
        .size:           8
        .value_kind:     global_buffer
      - .offset:         24
        .size:           4
        .value_kind:     hidden_block_count_x
      - .offset:         28
        .size:           4
        .value_kind:     hidden_block_count_y
      - .offset:         32
        .size:           4
        .value_kind:     hidden_block_count_z
      - .offset:         36
        .size:           2
        .value_kind:     hidden_group_size_x
      - .offset:         38
        .size:           2
        .value_kind:     hidden_group_size_y
      - .offset:         40
        .size:           2
        .value_kind:     hidden_group_size_z
      - .offset:         42
        .size:           2
        .value_kind:     hidden_remainder_x
      - .offset:         44
        .size:           2
        .value_kind:     hidden_remainder_y
      - .offset:         46
        .size:           2
        .value_kind:     hidden_remainder_z
      - .offset:         64
        .size:           8
        .value_kind:     hidden_global_offset_x
      - .offset:         72
        .size:           8
        .value_kind:     hidden_global_offset_y
      - .offset:         80
        .size:           8
        .value_kind:     hidden_global_offset_z
      - .offset:         88
        .size:           2
        .value_kind:     hidden_grid_dims
    .group_segment_fixed_size: 0
    .kernarg_segment_align: 8
    .kernarg_segment_size: 280
    .language:       OpenCL C
    .language_version:
      - 2
      - 0
    .max_flat_workgroup_size: 64
    .name:           _Z33tail_segmented_warp_reduce_kernelI6__halfhLj64ELj1EENSt9enable_ifIXsr10test_utilsE35device_test_enabled_for_warp_size_vIXT2_EEEvE4typeEPT_PT0_S5_
    .private_segment_fixed_size: 0
    .sgpr_count:     18
    .sgpr_spill_count: 0
    .symbol:         _Z33tail_segmented_warp_reduce_kernelI6__halfhLj64ELj1EENSt9enable_ifIXsr10test_utilsE35device_test_enabled_for_warp_size_vIXT2_EEEvE4typeEPT_PT0_S5_.kd
    .uniform_work_group_size: 1
    .uses_dynamic_stack: false
    .vgpr_count:     4
    .vgpr_spill_count: 0
    .wavefront_size: 32
    .workgroup_processor_mode: 1
  - .args:
      - .address_space:  global
        .offset:         0
        .size:           8
        .value_kind:     global_buffer
      - .address_space:  global
        .offset:         8
        .size:           8
        .value_kind:     global_buffer
      - .address_space:  global
        .offset:         16
        .size:           8
        .value_kind:     global_buffer
    .group_segment_fixed_size: 0
    .kernarg_segment_align: 8
    .kernarg_segment_size: 24
    .language:       OpenCL C
    .language_version:
      - 2
      - 0
    .max_flat_workgroup_size: 256
    .name:           _Z33tail_segmented_warp_reduce_kernelIfhLj256ELj64EENSt9enable_ifIXntsr10test_utilsE35device_test_enabled_for_warp_size_vIXT2_EEEvE4typeEPT_PT0_S4_
    .private_segment_fixed_size: 0
    .sgpr_count:     0
    .sgpr_spill_count: 0
    .symbol:         _Z33tail_segmented_warp_reduce_kernelIfhLj256ELj64EENSt9enable_ifIXntsr10test_utilsE35device_test_enabled_for_warp_size_vIXT2_EEEvE4typeEPT_PT0_S4_.kd
    .uniform_work_group_size: 1
    .uses_dynamic_stack: false
    .vgpr_count:     0
    .vgpr_spill_count: 0
    .wavefront_size: 32
    .workgroup_processor_mode: 1
  - .args:
      - .address_space:  global
        .offset:         0
        .size:           8
        .value_kind:     global_buffer
      - .address_space:  global
        .offset:         8
        .size:           8
        .value_kind:     global_buffer
      - .address_space:  global
        .offset:         16
        .size:           8
        .value_kind:     global_buffer
      - .offset:         24
        .size:           4
        .value_kind:     hidden_block_count_x
      - .offset:         28
        .size:           4
        .value_kind:     hidden_block_count_y
      - .offset:         32
        .size:           4
        .value_kind:     hidden_block_count_z
      - .offset:         36
        .size:           2
        .value_kind:     hidden_group_size_x
      - .offset:         38
        .size:           2
        .value_kind:     hidden_group_size_y
      - .offset:         40
        .size:           2
        .value_kind:     hidden_group_size_z
      - .offset:         42
        .size:           2
        .value_kind:     hidden_remainder_x
      - .offset:         44
        .size:           2
        .value_kind:     hidden_remainder_y
      - .offset:         46
        .size:           2
        .value_kind:     hidden_remainder_z
      - .offset:         64
        .size:           8
        .value_kind:     hidden_global_offset_x
      - .offset:         72
        .size:           8
        .value_kind:     hidden_global_offset_y
      - .offset:         80
        .size:           8
        .value_kind:     hidden_global_offset_z
      - .offset:         88
        .size:           2
        .value_kind:     hidden_grid_dims
    .group_segment_fixed_size: 0
    .kernarg_segment_align: 8
    .kernarg_segment_size: 280
    .language:       OpenCL C
    .language_version:
      - 2
      - 0
    .max_flat_workgroup_size: 128
    .name:           _Z33tail_segmented_warp_reduce_kernelIfhLj128ELj32EENSt9enable_ifIXsr10test_utilsE35device_test_enabled_for_warp_size_vIXT2_EEEvE4typeEPT_PT0_S4_
    .private_segment_fixed_size: 0
    .sgpr_count:     18
    .sgpr_spill_count: 0
    .symbol:         _Z33tail_segmented_warp_reduce_kernelIfhLj128ELj32EENSt9enable_ifIXsr10test_utilsE35device_test_enabled_for_warp_size_vIXT2_EEEvE4typeEPT_PT0_S4_.kd
    .uniform_work_group_size: 1
    .uses_dynamic_stack: false
    .vgpr_count:     8
    .vgpr_spill_count: 0
    .wavefront_size: 32
    .workgroup_processor_mode: 1
  - .args:
      - .address_space:  global
        .offset:         0
        .size:           8
        .value_kind:     global_buffer
      - .address_space:  global
        .offset:         8
        .size:           8
        .value_kind:     global_buffer
      - .address_space:  global
        .offset:         16
        .size:           8
        .value_kind:     global_buffer
      - .offset:         24
        .size:           4
        .value_kind:     hidden_block_count_x
      - .offset:         28
        .size:           4
        .value_kind:     hidden_block_count_y
      - .offset:         32
        .size:           4
        .value_kind:     hidden_block_count_z
      - .offset:         36
        .size:           2
        .value_kind:     hidden_group_size_x
      - .offset:         38
        .size:           2
        .value_kind:     hidden_group_size_y
      - .offset:         40
        .size:           2
        .value_kind:     hidden_group_size_z
      - .offset:         42
        .size:           2
        .value_kind:     hidden_remainder_x
      - .offset:         44
        .size:           2
        .value_kind:     hidden_remainder_y
      - .offset:         46
        .size:           2
        .value_kind:     hidden_remainder_z
      - .offset:         64
        .size:           8
        .value_kind:     hidden_global_offset_x
      - .offset:         72
        .size:           8
        .value_kind:     hidden_global_offset_y
      - .offset:         80
        .size:           8
        .value_kind:     hidden_global_offset_z
      - .offset:         88
        .size:           2
        .value_kind:     hidden_grid_dims
    .group_segment_fixed_size: 0
    .kernarg_segment_align: 8
    .kernarg_segment_size: 280
    .language:       OpenCL C
    .language_version:
      - 2
      - 0
    .max_flat_workgroup_size: 64
    .name:           _Z33tail_segmented_warp_reduce_kernelIfhLj64ELj16EENSt9enable_ifIXsr10test_utilsE35device_test_enabled_for_warp_size_vIXT2_EEEvE4typeEPT_PT0_S4_
    .private_segment_fixed_size: 0
    .sgpr_count:     18
    .sgpr_spill_count: 0
    .symbol:         _Z33tail_segmented_warp_reduce_kernelIfhLj64ELj16EENSt9enable_ifIXsr10test_utilsE35device_test_enabled_for_warp_size_vIXT2_EEEvE4typeEPT_PT0_S4_.kd
    .uniform_work_group_size: 1
    .uses_dynamic_stack: false
    .vgpr_count:     10
    .vgpr_spill_count: 0
    .wavefront_size: 32
    .workgroup_processor_mode: 1
  - .args:
      - .address_space:  global
        .offset:         0
        .size:           8
        .value_kind:     global_buffer
      - .address_space:  global
        .offset:         8
        .size:           8
        .value_kind:     global_buffer
      - .address_space:  global
        .offset:         16
        .size:           8
        .value_kind:     global_buffer
      - .offset:         24
        .size:           4
        .value_kind:     hidden_block_count_x
      - .offset:         28
        .size:           4
        .value_kind:     hidden_block_count_y
      - .offset:         32
        .size:           4
        .value_kind:     hidden_block_count_z
      - .offset:         36
        .size:           2
        .value_kind:     hidden_group_size_x
      - .offset:         38
        .size:           2
        .value_kind:     hidden_group_size_y
      - .offset:         40
        .size:           2
        .value_kind:     hidden_group_size_z
      - .offset:         42
        .size:           2
        .value_kind:     hidden_remainder_x
      - .offset:         44
        .size:           2
        .value_kind:     hidden_remainder_y
      - .offset:         46
        .size:           2
        .value_kind:     hidden_remainder_z
      - .offset:         64
        .size:           8
        .value_kind:     hidden_global_offset_x
      - .offset:         72
        .size:           8
        .value_kind:     hidden_global_offset_y
      - .offset:         80
        .size:           8
        .value_kind:     hidden_global_offset_z
      - .offset:         88
        .size:           2
        .value_kind:     hidden_grid_dims
    .group_segment_fixed_size: 0
    .kernarg_segment_align: 8
    .kernarg_segment_size: 280
    .language:       OpenCL C
    .language_version:
      - 2
      - 0
    .max_flat_workgroup_size: 32
    .name:           _Z33tail_segmented_warp_reduce_kernelIfhLj32ELj8EENSt9enable_ifIXsr10test_utilsE35device_test_enabled_for_warp_size_vIXT2_EEEvE4typeEPT_PT0_S4_
    .private_segment_fixed_size: 0
    .sgpr_count:     18
    .sgpr_spill_count: 0
    .symbol:         _Z33tail_segmented_warp_reduce_kernelIfhLj32ELj8EENSt9enable_ifIXsr10test_utilsE35device_test_enabled_for_warp_size_vIXT2_EEEvE4typeEPT_PT0_S4_.kd
    .uniform_work_group_size: 1
    .uses_dynamic_stack: false
    .vgpr_count:     10
    .vgpr_spill_count: 0
    .wavefront_size: 32
    .workgroup_processor_mode: 1
  - .args:
      - .address_space:  global
        .offset:         0
        .size:           8
        .value_kind:     global_buffer
      - .address_space:  global
        .offset:         8
        .size:           8
        .value_kind:     global_buffer
      - .address_space:  global
        .offset:         16
        .size:           8
        .value_kind:     global_buffer
      - .offset:         24
        .size:           4
        .value_kind:     hidden_block_count_x
      - .offset:         28
        .size:           4
        .value_kind:     hidden_block_count_y
      - .offset:         32
        .size:           4
        .value_kind:     hidden_block_count_z
      - .offset:         36
        .size:           2
        .value_kind:     hidden_group_size_x
      - .offset:         38
        .size:           2
        .value_kind:     hidden_group_size_y
      - .offset:         40
        .size:           2
        .value_kind:     hidden_group_size_z
      - .offset:         42
        .size:           2
        .value_kind:     hidden_remainder_x
      - .offset:         44
        .size:           2
        .value_kind:     hidden_remainder_y
      - .offset:         46
        .size:           2
        .value_kind:     hidden_remainder_z
      - .offset:         64
        .size:           8
        .value_kind:     hidden_global_offset_x
      - .offset:         72
        .size:           8
        .value_kind:     hidden_global_offset_y
      - .offset:         80
        .size:           8
        .value_kind:     hidden_global_offset_z
      - .offset:         88
        .size:           2
        .value_kind:     hidden_grid_dims
    .group_segment_fixed_size: 0
    .kernarg_segment_align: 8
    .kernarg_segment_size: 280
    .language:       OpenCL C
    .language_version:
      - 2
      - 0
    .max_flat_workgroup_size: 64
    .name:           _Z33tail_segmented_warp_reduce_kernelIfhLj64ELj8EENSt9enable_ifIXsr10test_utilsE35device_test_enabled_for_warp_size_vIXT2_EEEvE4typeEPT_PT0_S4_
    .private_segment_fixed_size: 0
    .sgpr_count:     18
    .sgpr_spill_count: 0
    .symbol:         _Z33tail_segmented_warp_reduce_kernelIfhLj64ELj8EENSt9enable_ifIXsr10test_utilsE35device_test_enabled_for_warp_size_vIXT2_EEEvE4typeEPT_PT0_S4_.kd
    .uniform_work_group_size: 1
    .uses_dynamic_stack: false
    .vgpr_count:     10
    .vgpr_spill_count: 0
    .wavefront_size: 32
    .workgroup_processor_mode: 1
  - .args:
      - .address_space:  global
        .offset:         0
        .size:           8
        .value_kind:     global_buffer
      - .address_space:  global
        .offset:         8
        .size:           8
        .value_kind:     global_buffer
      - .address_space:  global
        .offset:         16
        .size:           8
        .value_kind:     global_buffer
      - .offset:         24
        .size:           4
        .value_kind:     hidden_block_count_x
      - .offset:         28
        .size:           4
        .value_kind:     hidden_block_count_y
      - .offset:         32
        .size:           4
        .value_kind:     hidden_block_count_z
      - .offset:         36
        .size:           2
        .value_kind:     hidden_group_size_x
      - .offset:         38
        .size:           2
        .value_kind:     hidden_group_size_y
      - .offset:         40
        .size:           2
        .value_kind:     hidden_group_size_z
      - .offset:         42
        .size:           2
        .value_kind:     hidden_remainder_x
      - .offset:         44
        .size:           2
        .value_kind:     hidden_remainder_y
      - .offset:         46
        .size:           2
        .value_kind:     hidden_remainder_z
      - .offset:         64
        .size:           8
        .value_kind:     hidden_global_offset_x
      - .offset:         72
        .size:           8
        .value_kind:     hidden_global_offset_y
      - .offset:         80
        .size:           8
        .value_kind:     hidden_global_offset_z
      - .offset:         88
        .size:           2
        .value_kind:     hidden_grid_dims
    .group_segment_fixed_size: 0
    .kernarg_segment_align: 8
    .kernarg_segment_size: 280
    .language:       OpenCL C
    .language_version:
      - 2
      - 0
    .max_flat_workgroup_size: 32
    .name:           _Z33tail_segmented_warp_reduce_kernelIfhLj32ELj4EENSt9enable_ifIXsr10test_utilsE35device_test_enabled_for_warp_size_vIXT2_EEEvE4typeEPT_PT0_S4_
    .private_segment_fixed_size: 0
    .sgpr_count:     18
    .sgpr_spill_count: 0
    .symbol:         _Z33tail_segmented_warp_reduce_kernelIfhLj32ELj4EENSt9enable_ifIXsr10test_utilsE35device_test_enabled_for_warp_size_vIXT2_EEEvE4typeEPT_PT0_S4_.kd
    .uniform_work_group_size: 1
    .uses_dynamic_stack: false
    .vgpr_count:     8
    .vgpr_spill_count: 0
    .wavefront_size: 32
    .workgroup_processor_mode: 1
  - .args:
      - .address_space:  global
        .offset:         0
        .size:           8
        .value_kind:     global_buffer
      - .address_space:  global
        .offset:         8
        .size:           8
        .value_kind:     global_buffer
      - .address_space:  global
        .offset:         16
        .size:           8
        .value_kind:     global_buffer
      - .offset:         24
        .size:           4
        .value_kind:     hidden_block_count_x
      - .offset:         28
        .size:           4
        .value_kind:     hidden_block_count_y
      - .offset:         32
        .size:           4
        .value_kind:     hidden_block_count_z
      - .offset:         36
        .size:           2
        .value_kind:     hidden_group_size_x
      - .offset:         38
        .size:           2
        .value_kind:     hidden_group_size_y
      - .offset:         40
        .size:           2
        .value_kind:     hidden_group_size_z
      - .offset:         42
        .size:           2
        .value_kind:     hidden_remainder_x
      - .offset:         44
        .size:           2
        .value_kind:     hidden_remainder_y
      - .offset:         46
        .size:           2
        .value_kind:     hidden_remainder_z
      - .offset:         64
        .size:           8
        .value_kind:     hidden_global_offset_x
      - .offset:         72
        .size:           8
        .value_kind:     hidden_global_offset_y
      - .offset:         80
        .size:           8
        .value_kind:     hidden_global_offset_z
      - .offset:         88
        .size:           2
        .value_kind:     hidden_grid_dims
    .group_segment_fixed_size: 0
    .kernarg_segment_align: 8
    .kernarg_segment_size: 280
    .language:       OpenCL C
    .language_version:
      - 2
      - 0
    .max_flat_workgroup_size: 64
    .name:           _Z33tail_segmented_warp_reduce_kernelIfhLj64ELj4EENSt9enable_ifIXsr10test_utilsE35device_test_enabled_for_warp_size_vIXT2_EEEvE4typeEPT_PT0_S4_
    .private_segment_fixed_size: 0
    .sgpr_count:     18
    .sgpr_spill_count: 0
    .symbol:         _Z33tail_segmented_warp_reduce_kernelIfhLj64ELj4EENSt9enable_ifIXsr10test_utilsE35device_test_enabled_for_warp_size_vIXT2_EEEvE4typeEPT_PT0_S4_.kd
    .uniform_work_group_size: 1
    .uses_dynamic_stack: false
    .vgpr_count:     8
    .vgpr_spill_count: 0
    .wavefront_size: 32
    .workgroup_processor_mode: 1
  - .args:
      - .address_space:  global
        .offset:         0
        .size:           8
        .value_kind:     global_buffer
      - .address_space:  global
        .offset:         8
        .size:           8
        .value_kind:     global_buffer
      - .address_space:  global
        .offset:         16
        .size:           8
        .value_kind:     global_buffer
      - .offset:         24
        .size:           4
        .value_kind:     hidden_block_count_x
      - .offset:         28
        .size:           4
        .value_kind:     hidden_block_count_y
      - .offset:         32
        .size:           4
        .value_kind:     hidden_block_count_z
      - .offset:         36
        .size:           2
        .value_kind:     hidden_group_size_x
      - .offset:         38
        .size:           2
        .value_kind:     hidden_group_size_y
      - .offset:         40
        .size:           2
        .value_kind:     hidden_group_size_z
      - .offset:         42
        .size:           2
        .value_kind:     hidden_remainder_x
      - .offset:         44
        .size:           2
        .value_kind:     hidden_remainder_y
      - .offset:         46
        .size:           2
        .value_kind:     hidden_remainder_z
      - .offset:         64
        .size:           8
        .value_kind:     hidden_global_offset_x
      - .offset:         72
        .size:           8
        .value_kind:     hidden_global_offset_y
      - .offset:         80
        .size:           8
        .value_kind:     hidden_global_offset_z
      - .offset:         88
        .size:           2
        .value_kind:     hidden_grid_dims
    .group_segment_fixed_size: 0
    .kernarg_segment_align: 8
    .kernarg_segment_size: 280
    .language:       OpenCL C
    .language_version:
      - 2
      - 0
    .max_flat_workgroup_size: 32
    .name:           _Z33tail_segmented_warp_reduce_kernelIfhLj32ELj2EENSt9enable_ifIXsr10test_utilsE35device_test_enabled_for_warp_size_vIXT2_EEEvE4typeEPT_PT0_S4_
    .private_segment_fixed_size: 0
    .sgpr_count:     18
    .sgpr_spill_count: 0
    .symbol:         _Z33tail_segmented_warp_reduce_kernelIfhLj32ELj2EENSt9enable_ifIXsr10test_utilsE35device_test_enabled_for_warp_size_vIXT2_EEEvE4typeEPT_PT0_S4_.kd
    .uniform_work_group_size: 1
    .uses_dynamic_stack: false
    .vgpr_count:     7
    .vgpr_spill_count: 0
    .wavefront_size: 32
    .workgroup_processor_mode: 1
  - .args:
      - .address_space:  global
        .offset:         0
        .size:           8
        .value_kind:     global_buffer
      - .address_space:  global
        .offset:         8
        .size:           8
        .value_kind:     global_buffer
      - .address_space:  global
        .offset:         16
        .size:           8
        .value_kind:     global_buffer
      - .offset:         24
        .size:           4
        .value_kind:     hidden_block_count_x
      - .offset:         28
        .size:           4
        .value_kind:     hidden_block_count_y
      - .offset:         32
        .size:           4
        .value_kind:     hidden_block_count_z
      - .offset:         36
        .size:           2
        .value_kind:     hidden_group_size_x
      - .offset:         38
        .size:           2
        .value_kind:     hidden_group_size_y
      - .offset:         40
        .size:           2
        .value_kind:     hidden_group_size_z
      - .offset:         42
        .size:           2
        .value_kind:     hidden_remainder_x
      - .offset:         44
        .size:           2
        .value_kind:     hidden_remainder_y
      - .offset:         46
        .size:           2
        .value_kind:     hidden_remainder_z
      - .offset:         64
        .size:           8
        .value_kind:     hidden_global_offset_x
      - .offset:         72
        .size:           8
        .value_kind:     hidden_global_offset_y
      - .offset:         80
        .size:           8
        .value_kind:     hidden_global_offset_z
      - .offset:         88
        .size:           2
        .value_kind:     hidden_grid_dims
    .group_segment_fixed_size: 0
    .kernarg_segment_align: 8
    .kernarg_segment_size: 280
    .language:       OpenCL C
    .language_version:
      - 2
      - 0
    .max_flat_workgroup_size: 64
    .name:           _Z33tail_segmented_warp_reduce_kernelIfhLj64ELj2EENSt9enable_ifIXsr10test_utilsE35device_test_enabled_for_warp_size_vIXT2_EEEvE4typeEPT_PT0_S4_
    .private_segment_fixed_size: 0
    .sgpr_count:     18
    .sgpr_spill_count: 0
    .symbol:         _Z33tail_segmented_warp_reduce_kernelIfhLj64ELj2EENSt9enable_ifIXsr10test_utilsE35device_test_enabled_for_warp_size_vIXT2_EEEvE4typeEPT_PT0_S4_.kd
    .uniform_work_group_size: 1
    .uses_dynamic_stack: false
    .vgpr_count:     7
    .vgpr_spill_count: 0
    .wavefront_size: 32
    .workgroup_processor_mode: 1
  - .args:
      - .address_space:  global
        .offset:         0
        .size:           8
        .value_kind:     global_buffer
      - .address_space:  global
        .offset:         8
        .size:           8
        .value_kind:     global_buffer
      - .address_space:  global
        .offset:         16
        .size:           8
        .value_kind:     global_buffer
      - .offset:         24
        .size:           4
        .value_kind:     hidden_block_count_x
      - .offset:         28
        .size:           4
        .value_kind:     hidden_block_count_y
      - .offset:         32
        .size:           4
        .value_kind:     hidden_block_count_z
      - .offset:         36
        .size:           2
        .value_kind:     hidden_group_size_x
      - .offset:         38
        .size:           2
        .value_kind:     hidden_group_size_y
      - .offset:         40
        .size:           2
        .value_kind:     hidden_group_size_z
      - .offset:         42
        .size:           2
        .value_kind:     hidden_remainder_x
      - .offset:         44
        .size:           2
        .value_kind:     hidden_remainder_y
      - .offset:         46
        .size:           2
        .value_kind:     hidden_remainder_z
      - .offset:         64
        .size:           8
        .value_kind:     hidden_global_offset_x
      - .offset:         72
        .size:           8
        .value_kind:     hidden_global_offset_y
      - .offset:         80
        .size:           8
        .value_kind:     hidden_global_offset_z
      - .offset:         88
        .size:           2
        .value_kind:     hidden_grid_dims
    .group_segment_fixed_size: 0
    .kernarg_segment_align: 8
    .kernarg_segment_size: 280
    .language:       OpenCL C
    .language_version:
      - 2
      - 0
    .max_flat_workgroup_size: 32
    .name:           _Z33tail_segmented_warp_reduce_kernelIfhLj32ELj1EENSt9enable_ifIXsr10test_utilsE35device_test_enabled_for_warp_size_vIXT2_EEEvE4typeEPT_PT0_S4_
    .private_segment_fixed_size: 0
    .sgpr_count:     18
    .sgpr_spill_count: 0
    .symbol:         _Z33tail_segmented_warp_reduce_kernelIfhLj32ELj1EENSt9enable_ifIXsr10test_utilsE35device_test_enabled_for_warp_size_vIXT2_EEEvE4typeEPT_PT0_S4_.kd
    .uniform_work_group_size: 1
    .uses_dynamic_stack: false
    .vgpr_count:     4
    .vgpr_spill_count: 0
    .wavefront_size: 32
    .workgroup_processor_mode: 1
  - .args:
      - .address_space:  global
        .offset:         0
        .size:           8
        .value_kind:     global_buffer
      - .address_space:  global
        .offset:         8
        .size:           8
        .value_kind:     global_buffer
      - .address_space:  global
        .offset:         16
        .size:           8
        .value_kind:     global_buffer
      - .offset:         24
        .size:           4
        .value_kind:     hidden_block_count_x
      - .offset:         28
        .size:           4
        .value_kind:     hidden_block_count_y
      - .offset:         32
        .size:           4
        .value_kind:     hidden_block_count_z
      - .offset:         36
        .size:           2
        .value_kind:     hidden_group_size_x
      - .offset:         38
        .size:           2
        .value_kind:     hidden_group_size_y
      - .offset:         40
        .size:           2
        .value_kind:     hidden_group_size_z
      - .offset:         42
        .size:           2
        .value_kind:     hidden_remainder_x
      - .offset:         44
        .size:           2
        .value_kind:     hidden_remainder_y
      - .offset:         46
        .size:           2
        .value_kind:     hidden_remainder_z
      - .offset:         64
        .size:           8
        .value_kind:     hidden_global_offset_x
      - .offset:         72
        .size:           8
        .value_kind:     hidden_global_offset_y
      - .offset:         80
        .size:           8
        .value_kind:     hidden_global_offset_z
      - .offset:         88
        .size:           2
        .value_kind:     hidden_grid_dims
    .group_segment_fixed_size: 0
    .kernarg_segment_align: 8
    .kernarg_segment_size: 280
    .language:       OpenCL C
    .language_version:
      - 2
      - 0
    .max_flat_workgroup_size: 64
    .name:           _Z33tail_segmented_warp_reduce_kernelIfhLj64ELj1EENSt9enable_ifIXsr10test_utilsE35device_test_enabled_for_warp_size_vIXT2_EEEvE4typeEPT_PT0_S4_
    .private_segment_fixed_size: 0
    .sgpr_count:     18
    .sgpr_spill_count: 0
    .symbol:         _Z33tail_segmented_warp_reduce_kernelIfhLj64ELj1EENSt9enable_ifIXsr10test_utilsE35device_test_enabled_for_warp_size_vIXT2_EEEvE4typeEPT_PT0_S4_.kd
    .uniform_work_group_size: 1
    .uses_dynamic_stack: false
    .vgpr_count:     4
    .vgpr_spill_count: 0
    .wavefront_size: 32
    .workgroup_processor_mode: 1
  - .args:
      - .address_space:  global
        .offset:         0
        .size:           8
        .value_kind:     global_buffer
      - .address_space:  global
        .offset:         8
        .size:           8
        .value_kind:     global_buffer
      - .address_space:  global
        .offset:         16
        .size:           8
        .value_kind:     global_buffer
    .group_segment_fixed_size: 0
    .kernarg_segment_align: 8
    .kernarg_segment_size: 24
    .language:       OpenCL C
    .language_version:
      - 2
      - 0
    .max_flat_workgroup_size: 256
    .name:           _Z33tail_segmented_warp_reduce_kernelIihLj256ELj64EENSt9enable_ifIXntsr10test_utilsE35device_test_enabled_for_warp_size_vIXT2_EEEvE4typeEPT_PT0_S4_
    .private_segment_fixed_size: 0
    .sgpr_count:     0
    .sgpr_spill_count: 0
    .symbol:         _Z33tail_segmented_warp_reduce_kernelIihLj256ELj64EENSt9enable_ifIXntsr10test_utilsE35device_test_enabled_for_warp_size_vIXT2_EEEvE4typeEPT_PT0_S4_.kd
    .uniform_work_group_size: 1
    .uses_dynamic_stack: false
    .vgpr_count:     0
    .vgpr_spill_count: 0
    .wavefront_size: 32
    .workgroup_processor_mode: 1
  - .args:
      - .address_space:  global
        .offset:         0
        .size:           8
        .value_kind:     global_buffer
      - .address_space:  global
        .offset:         8
        .size:           8
        .value_kind:     global_buffer
      - .address_space:  global
        .offset:         16
        .size:           8
        .value_kind:     global_buffer
      - .offset:         24
        .size:           4
        .value_kind:     hidden_block_count_x
      - .offset:         28
        .size:           4
        .value_kind:     hidden_block_count_y
      - .offset:         32
        .size:           4
        .value_kind:     hidden_block_count_z
      - .offset:         36
        .size:           2
        .value_kind:     hidden_group_size_x
      - .offset:         38
        .size:           2
        .value_kind:     hidden_group_size_y
      - .offset:         40
        .size:           2
        .value_kind:     hidden_group_size_z
      - .offset:         42
        .size:           2
        .value_kind:     hidden_remainder_x
      - .offset:         44
        .size:           2
        .value_kind:     hidden_remainder_y
      - .offset:         46
        .size:           2
        .value_kind:     hidden_remainder_z
      - .offset:         64
        .size:           8
        .value_kind:     hidden_global_offset_x
      - .offset:         72
        .size:           8
        .value_kind:     hidden_global_offset_y
      - .offset:         80
        .size:           8
        .value_kind:     hidden_global_offset_z
      - .offset:         88
        .size:           2
        .value_kind:     hidden_grid_dims
    .group_segment_fixed_size: 0
    .kernarg_segment_align: 8
    .kernarg_segment_size: 280
    .language:       OpenCL C
    .language_version:
      - 2
      - 0
    .max_flat_workgroup_size: 128
    .name:           _Z33tail_segmented_warp_reduce_kernelIihLj128ELj32EENSt9enable_ifIXsr10test_utilsE35device_test_enabled_for_warp_size_vIXT2_EEEvE4typeEPT_PT0_S4_
    .private_segment_fixed_size: 0
    .sgpr_count:     18
    .sgpr_spill_count: 0
    .symbol:         _Z33tail_segmented_warp_reduce_kernelIihLj128ELj32EENSt9enable_ifIXsr10test_utilsE35device_test_enabled_for_warp_size_vIXT2_EEEvE4typeEPT_PT0_S4_.kd
    .uniform_work_group_size: 1
    .uses_dynamic_stack: false
    .vgpr_count:     8
    .vgpr_spill_count: 0
    .wavefront_size: 32
    .workgroup_processor_mode: 1
  - .args:
      - .address_space:  global
        .offset:         0
        .size:           8
        .value_kind:     global_buffer
      - .address_space:  global
        .offset:         8
        .size:           8
        .value_kind:     global_buffer
      - .address_space:  global
        .offset:         16
        .size:           8
        .value_kind:     global_buffer
      - .offset:         24
        .size:           4
        .value_kind:     hidden_block_count_x
      - .offset:         28
        .size:           4
        .value_kind:     hidden_block_count_y
      - .offset:         32
        .size:           4
        .value_kind:     hidden_block_count_z
      - .offset:         36
        .size:           2
        .value_kind:     hidden_group_size_x
      - .offset:         38
        .size:           2
        .value_kind:     hidden_group_size_y
      - .offset:         40
        .size:           2
        .value_kind:     hidden_group_size_z
      - .offset:         42
        .size:           2
        .value_kind:     hidden_remainder_x
      - .offset:         44
        .size:           2
        .value_kind:     hidden_remainder_y
      - .offset:         46
        .size:           2
        .value_kind:     hidden_remainder_z
      - .offset:         64
        .size:           8
        .value_kind:     hidden_global_offset_x
      - .offset:         72
        .size:           8
        .value_kind:     hidden_global_offset_y
      - .offset:         80
        .size:           8
        .value_kind:     hidden_global_offset_z
      - .offset:         88
        .size:           2
        .value_kind:     hidden_grid_dims
    .group_segment_fixed_size: 0
    .kernarg_segment_align: 8
    .kernarg_segment_size: 280
    .language:       OpenCL C
    .language_version:
      - 2
      - 0
    .max_flat_workgroup_size: 64
    .name:           _Z33tail_segmented_warp_reduce_kernelIihLj64ELj16EENSt9enable_ifIXsr10test_utilsE35device_test_enabled_for_warp_size_vIXT2_EEEvE4typeEPT_PT0_S4_
    .private_segment_fixed_size: 0
    .sgpr_count:     18
    .sgpr_spill_count: 0
    .symbol:         _Z33tail_segmented_warp_reduce_kernelIihLj64ELj16EENSt9enable_ifIXsr10test_utilsE35device_test_enabled_for_warp_size_vIXT2_EEEvE4typeEPT_PT0_S4_.kd
    .uniform_work_group_size: 1
    .uses_dynamic_stack: false
    .vgpr_count:     9
    .vgpr_spill_count: 0
    .wavefront_size: 32
    .workgroup_processor_mode: 1
  - .args:
      - .address_space:  global
        .offset:         0
        .size:           8
        .value_kind:     global_buffer
      - .address_space:  global
        .offset:         8
        .size:           8
        .value_kind:     global_buffer
      - .address_space:  global
        .offset:         16
        .size:           8
        .value_kind:     global_buffer
      - .offset:         24
        .size:           4
        .value_kind:     hidden_block_count_x
      - .offset:         28
        .size:           4
        .value_kind:     hidden_block_count_y
      - .offset:         32
        .size:           4
        .value_kind:     hidden_block_count_z
      - .offset:         36
        .size:           2
        .value_kind:     hidden_group_size_x
      - .offset:         38
        .size:           2
        .value_kind:     hidden_group_size_y
      - .offset:         40
        .size:           2
        .value_kind:     hidden_group_size_z
      - .offset:         42
        .size:           2
        .value_kind:     hidden_remainder_x
      - .offset:         44
        .size:           2
        .value_kind:     hidden_remainder_y
      - .offset:         46
        .size:           2
        .value_kind:     hidden_remainder_z
      - .offset:         64
        .size:           8
        .value_kind:     hidden_global_offset_x
      - .offset:         72
        .size:           8
        .value_kind:     hidden_global_offset_y
      - .offset:         80
        .size:           8
        .value_kind:     hidden_global_offset_z
      - .offset:         88
        .size:           2
        .value_kind:     hidden_grid_dims
    .group_segment_fixed_size: 0
    .kernarg_segment_align: 8
    .kernarg_segment_size: 280
    .language:       OpenCL C
    .language_version:
      - 2
      - 0
    .max_flat_workgroup_size: 32
    .name:           _Z33tail_segmented_warp_reduce_kernelIihLj32ELj8EENSt9enable_ifIXsr10test_utilsE35device_test_enabled_for_warp_size_vIXT2_EEEvE4typeEPT_PT0_S4_
    .private_segment_fixed_size: 0
    .sgpr_count:     18
    .sgpr_spill_count: 0
    .symbol:         _Z33tail_segmented_warp_reduce_kernelIihLj32ELj8EENSt9enable_ifIXsr10test_utilsE35device_test_enabled_for_warp_size_vIXT2_EEEvE4typeEPT_PT0_S4_.kd
    .uniform_work_group_size: 1
    .uses_dynamic_stack: false
    .vgpr_count:     9
    .vgpr_spill_count: 0
    .wavefront_size: 32
    .workgroup_processor_mode: 1
  - .args:
      - .address_space:  global
        .offset:         0
        .size:           8
        .value_kind:     global_buffer
      - .address_space:  global
        .offset:         8
        .size:           8
        .value_kind:     global_buffer
      - .address_space:  global
        .offset:         16
        .size:           8
        .value_kind:     global_buffer
      - .offset:         24
        .size:           4
        .value_kind:     hidden_block_count_x
      - .offset:         28
        .size:           4
        .value_kind:     hidden_block_count_y
      - .offset:         32
        .size:           4
        .value_kind:     hidden_block_count_z
      - .offset:         36
        .size:           2
        .value_kind:     hidden_group_size_x
      - .offset:         38
        .size:           2
        .value_kind:     hidden_group_size_y
      - .offset:         40
        .size:           2
        .value_kind:     hidden_group_size_z
      - .offset:         42
        .size:           2
        .value_kind:     hidden_remainder_x
      - .offset:         44
        .size:           2
        .value_kind:     hidden_remainder_y
      - .offset:         46
        .size:           2
        .value_kind:     hidden_remainder_z
      - .offset:         64
        .size:           8
        .value_kind:     hidden_global_offset_x
      - .offset:         72
        .size:           8
        .value_kind:     hidden_global_offset_y
      - .offset:         80
        .size:           8
        .value_kind:     hidden_global_offset_z
      - .offset:         88
        .size:           2
        .value_kind:     hidden_grid_dims
    .group_segment_fixed_size: 0
    .kernarg_segment_align: 8
    .kernarg_segment_size: 280
    .language:       OpenCL C
    .language_version:
      - 2
      - 0
    .max_flat_workgroup_size: 64
    .name:           _Z33tail_segmented_warp_reduce_kernelIihLj64ELj8EENSt9enable_ifIXsr10test_utilsE35device_test_enabled_for_warp_size_vIXT2_EEEvE4typeEPT_PT0_S4_
    .private_segment_fixed_size: 0
    .sgpr_count:     18
    .sgpr_spill_count: 0
    .symbol:         _Z33tail_segmented_warp_reduce_kernelIihLj64ELj8EENSt9enable_ifIXsr10test_utilsE35device_test_enabled_for_warp_size_vIXT2_EEEvE4typeEPT_PT0_S4_.kd
    .uniform_work_group_size: 1
    .uses_dynamic_stack: false
    .vgpr_count:     9
    .vgpr_spill_count: 0
    .wavefront_size: 32
    .workgroup_processor_mode: 1
  - .args:
      - .address_space:  global
        .offset:         0
        .size:           8
        .value_kind:     global_buffer
      - .address_space:  global
        .offset:         8
        .size:           8
        .value_kind:     global_buffer
      - .address_space:  global
        .offset:         16
        .size:           8
        .value_kind:     global_buffer
      - .offset:         24
        .size:           4
        .value_kind:     hidden_block_count_x
      - .offset:         28
        .size:           4
        .value_kind:     hidden_block_count_y
      - .offset:         32
        .size:           4
        .value_kind:     hidden_block_count_z
      - .offset:         36
        .size:           2
        .value_kind:     hidden_group_size_x
      - .offset:         38
        .size:           2
        .value_kind:     hidden_group_size_y
      - .offset:         40
        .size:           2
        .value_kind:     hidden_group_size_z
      - .offset:         42
        .size:           2
        .value_kind:     hidden_remainder_x
      - .offset:         44
        .size:           2
        .value_kind:     hidden_remainder_y
      - .offset:         46
        .size:           2
        .value_kind:     hidden_remainder_z
      - .offset:         64
        .size:           8
        .value_kind:     hidden_global_offset_x
      - .offset:         72
        .size:           8
        .value_kind:     hidden_global_offset_y
      - .offset:         80
        .size:           8
        .value_kind:     hidden_global_offset_z
      - .offset:         88
        .size:           2
        .value_kind:     hidden_grid_dims
    .group_segment_fixed_size: 0
    .kernarg_segment_align: 8
    .kernarg_segment_size: 280
    .language:       OpenCL C
    .language_version:
      - 2
      - 0
    .max_flat_workgroup_size: 32
    .name:           _Z33tail_segmented_warp_reduce_kernelIihLj32ELj4EENSt9enable_ifIXsr10test_utilsE35device_test_enabled_for_warp_size_vIXT2_EEEvE4typeEPT_PT0_S4_
    .private_segment_fixed_size: 0
    .sgpr_count:     18
    .sgpr_spill_count: 0
    .symbol:         _Z33tail_segmented_warp_reduce_kernelIihLj32ELj4EENSt9enable_ifIXsr10test_utilsE35device_test_enabled_for_warp_size_vIXT2_EEEvE4typeEPT_PT0_S4_.kd
    .uniform_work_group_size: 1
    .uses_dynamic_stack: false
    .vgpr_count:     8
    .vgpr_spill_count: 0
    .wavefront_size: 32
    .workgroup_processor_mode: 1
  - .args:
      - .address_space:  global
        .offset:         0
        .size:           8
        .value_kind:     global_buffer
      - .address_space:  global
        .offset:         8
        .size:           8
        .value_kind:     global_buffer
      - .address_space:  global
        .offset:         16
        .size:           8
        .value_kind:     global_buffer
      - .offset:         24
        .size:           4
        .value_kind:     hidden_block_count_x
      - .offset:         28
        .size:           4
        .value_kind:     hidden_block_count_y
      - .offset:         32
        .size:           4
        .value_kind:     hidden_block_count_z
      - .offset:         36
        .size:           2
        .value_kind:     hidden_group_size_x
      - .offset:         38
        .size:           2
        .value_kind:     hidden_group_size_y
      - .offset:         40
        .size:           2
        .value_kind:     hidden_group_size_z
      - .offset:         42
        .size:           2
        .value_kind:     hidden_remainder_x
      - .offset:         44
        .size:           2
        .value_kind:     hidden_remainder_y
      - .offset:         46
        .size:           2
        .value_kind:     hidden_remainder_z
      - .offset:         64
        .size:           8
        .value_kind:     hidden_global_offset_x
      - .offset:         72
        .size:           8
        .value_kind:     hidden_global_offset_y
      - .offset:         80
        .size:           8
        .value_kind:     hidden_global_offset_z
      - .offset:         88
        .size:           2
        .value_kind:     hidden_grid_dims
    .group_segment_fixed_size: 0
    .kernarg_segment_align: 8
    .kernarg_segment_size: 280
    .language:       OpenCL C
    .language_version:
      - 2
      - 0
    .max_flat_workgroup_size: 64
    .name:           _Z33tail_segmented_warp_reduce_kernelIihLj64ELj4EENSt9enable_ifIXsr10test_utilsE35device_test_enabled_for_warp_size_vIXT2_EEEvE4typeEPT_PT0_S4_
    .private_segment_fixed_size: 0
    .sgpr_count:     18
    .sgpr_spill_count: 0
    .symbol:         _Z33tail_segmented_warp_reduce_kernelIihLj64ELj4EENSt9enable_ifIXsr10test_utilsE35device_test_enabled_for_warp_size_vIXT2_EEEvE4typeEPT_PT0_S4_.kd
    .uniform_work_group_size: 1
    .uses_dynamic_stack: false
    .vgpr_count:     8
    .vgpr_spill_count: 0
    .wavefront_size: 32
    .workgroup_processor_mode: 1
  - .args:
      - .address_space:  global
        .offset:         0
        .size:           8
        .value_kind:     global_buffer
      - .address_space:  global
        .offset:         8
        .size:           8
        .value_kind:     global_buffer
      - .address_space:  global
        .offset:         16
        .size:           8
        .value_kind:     global_buffer
      - .offset:         24
        .size:           4
        .value_kind:     hidden_block_count_x
      - .offset:         28
        .size:           4
        .value_kind:     hidden_block_count_y
      - .offset:         32
        .size:           4
        .value_kind:     hidden_block_count_z
      - .offset:         36
        .size:           2
        .value_kind:     hidden_group_size_x
      - .offset:         38
        .size:           2
        .value_kind:     hidden_group_size_y
      - .offset:         40
        .size:           2
        .value_kind:     hidden_group_size_z
      - .offset:         42
        .size:           2
        .value_kind:     hidden_remainder_x
      - .offset:         44
        .size:           2
        .value_kind:     hidden_remainder_y
      - .offset:         46
        .size:           2
        .value_kind:     hidden_remainder_z
      - .offset:         64
        .size:           8
        .value_kind:     hidden_global_offset_x
      - .offset:         72
        .size:           8
        .value_kind:     hidden_global_offset_y
      - .offset:         80
        .size:           8
        .value_kind:     hidden_global_offset_z
      - .offset:         88
        .size:           2
        .value_kind:     hidden_grid_dims
    .group_segment_fixed_size: 0
    .kernarg_segment_align: 8
    .kernarg_segment_size: 280
    .language:       OpenCL C
    .language_version:
      - 2
      - 0
    .max_flat_workgroup_size: 32
    .name:           _Z33tail_segmented_warp_reduce_kernelIihLj32ELj2EENSt9enable_ifIXsr10test_utilsE35device_test_enabled_for_warp_size_vIXT2_EEEvE4typeEPT_PT0_S4_
    .private_segment_fixed_size: 0
    .sgpr_count:     18
    .sgpr_spill_count: 0
    .symbol:         _Z33tail_segmented_warp_reduce_kernelIihLj32ELj2EENSt9enable_ifIXsr10test_utilsE35device_test_enabled_for_warp_size_vIXT2_EEEvE4typeEPT_PT0_S4_.kd
    .uniform_work_group_size: 1
    .uses_dynamic_stack: false
    .vgpr_count:     7
    .vgpr_spill_count: 0
    .wavefront_size: 32
    .workgroup_processor_mode: 1
  - .args:
      - .address_space:  global
        .offset:         0
        .size:           8
        .value_kind:     global_buffer
      - .address_space:  global
        .offset:         8
        .size:           8
        .value_kind:     global_buffer
      - .address_space:  global
        .offset:         16
        .size:           8
        .value_kind:     global_buffer
      - .offset:         24
        .size:           4
        .value_kind:     hidden_block_count_x
      - .offset:         28
        .size:           4
        .value_kind:     hidden_block_count_y
      - .offset:         32
        .size:           4
        .value_kind:     hidden_block_count_z
      - .offset:         36
        .size:           2
        .value_kind:     hidden_group_size_x
      - .offset:         38
        .size:           2
        .value_kind:     hidden_group_size_y
      - .offset:         40
        .size:           2
        .value_kind:     hidden_group_size_z
      - .offset:         42
        .size:           2
        .value_kind:     hidden_remainder_x
      - .offset:         44
        .size:           2
        .value_kind:     hidden_remainder_y
      - .offset:         46
        .size:           2
        .value_kind:     hidden_remainder_z
      - .offset:         64
        .size:           8
        .value_kind:     hidden_global_offset_x
      - .offset:         72
        .size:           8
        .value_kind:     hidden_global_offset_y
      - .offset:         80
        .size:           8
        .value_kind:     hidden_global_offset_z
      - .offset:         88
        .size:           2
        .value_kind:     hidden_grid_dims
    .group_segment_fixed_size: 0
    .kernarg_segment_align: 8
    .kernarg_segment_size: 280
    .language:       OpenCL C
    .language_version:
      - 2
      - 0
    .max_flat_workgroup_size: 64
    .name:           _Z33tail_segmented_warp_reduce_kernelIihLj64ELj2EENSt9enable_ifIXsr10test_utilsE35device_test_enabled_for_warp_size_vIXT2_EEEvE4typeEPT_PT0_S4_
    .private_segment_fixed_size: 0
    .sgpr_count:     18
    .sgpr_spill_count: 0
    .symbol:         _Z33tail_segmented_warp_reduce_kernelIihLj64ELj2EENSt9enable_ifIXsr10test_utilsE35device_test_enabled_for_warp_size_vIXT2_EEEvE4typeEPT_PT0_S4_.kd
    .uniform_work_group_size: 1
    .uses_dynamic_stack: false
    .vgpr_count:     7
    .vgpr_spill_count: 0
    .wavefront_size: 32
    .workgroup_processor_mode: 1
  - .args:
      - .address_space:  global
        .offset:         0
        .size:           8
        .value_kind:     global_buffer
      - .address_space:  global
        .offset:         8
        .size:           8
        .value_kind:     global_buffer
      - .address_space:  global
        .offset:         16
        .size:           8
        .value_kind:     global_buffer
      - .offset:         24
        .size:           4
        .value_kind:     hidden_block_count_x
      - .offset:         28
        .size:           4
        .value_kind:     hidden_block_count_y
      - .offset:         32
        .size:           4
        .value_kind:     hidden_block_count_z
      - .offset:         36
        .size:           2
        .value_kind:     hidden_group_size_x
      - .offset:         38
        .size:           2
        .value_kind:     hidden_group_size_y
      - .offset:         40
        .size:           2
        .value_kind:     hidden_group_size_z
      - .offset:         42
        .size:           2
        .value_kind:     hidden_remainder_x
      - .offset:         44
        .size:           2
        .value_kind:     hidden_remainder_y
      - .offset:         46
        .size:           2
        .value_kind:     hidden_remainder_z
      - .offset:         64
        .size:           8
        .value_kind:     hidden_global_offset_x
      - .offset:         72
        .size:           8
        .value_kind:     hidden_global_offset_y
      - .offset:         80
        .size:           8
        .value_kind:     hidden_global_offset_z
      - .offset:         88
        .size:           2
        .value_kind:     hidden_grid_dims
    .group_segment_fixed_size: 0
    .kernarg_segment_align: 8
    .kernarg_segment_size: 280
    .language:       OpenCL C
    .language_version:
      - 2
      - 0
    .max_flat_workgroup_size: 32
    .name:           _Z33tail_segmented_warp_reduce_kernelIihLj32ELj1EENSt9enable_ifIXsr10test_utilsE35device_test_enabled_for_warp_size_vIXT2_EEEvE4typeEPT_PT0_S4_
    .private_segment_fixed_size: 0
    .sgpr_count:     18
    .sgpr_spill_count: 0
    .symbol:         _Z33tail_segmented_warp_reduce_kernelIihLj32ELj1EENSt9enable_ifIXsr10test_utilsE35device_test_enabled_for_warp_size_vIXT2_EEEvE4typeEPT_PT0_S4_.kd
    .uniform_work_group_size: 1
    .uses_dynamic_stack: false
    .vgpr_count:     4
    .vgpr_spill_count: 0
    .wavefront_size: 32
    .workgroup_processor_mode: 1
  - .args:
      - .address_space:  global
        .offset:         0
        .size:           8
        .value_kind:     global_buffer
      - .address_space:  global
        .offset:         8
        .size:           8
        .value_kind:     global_buffer
      - .address_space:  global
        .offset:         16
        .size:           8
        .value_kind:     global_buffer
      - .offset:         24
        .size:           4
        .value_kind:     hidden_block_count_x
      - .offset:         28
        .size:           4
        .value_kind:     hidden_block_count_y
      - .offset:         32
        .size:           4
        .value_kind:     hidden_block_count_z
      - .offset:         36
        .size:           2
        .value_kind:     hidden_group_size_x
      - .offset:         38
        .size:           2
        .value_kind:     hidden_group_size_y
      - .offset:         40
        .size:           2
        .value_kind:     hidden_group_size_z
      - .offset:         42
        .size:           2
        .value_kind:     hidden_remainder_x
      - .offset:         44
        .size:           2
        .value_kind:     hidden_remainder_y
      - .offset:         46
        .size:           2
        .value_kind:     hidden_remainder_z
      - .offset:         64
        .size:           8
        .value_kind:     hidden_global_offset_x
      - .offset:         72
        .size:           8
        .value_kind:     hidden_global_offset_y
      - .offset:         80
        .size:           8
        .value_kind:     hidden_global_offset_z
      - .offset:         88
        .size:           2
        .value_kind:     hidden_grid_dims
    .group_segment_fixed_size: 0
    .kernarg_segment_align: 8
    .kernarg_segment_size: 280
    .language:       OpenCL C
    .language_version:
      - 2
      - 0
    .max_flat_workgroup_size: 64
    .name:           _Z33tail_segmented_warp_reduce_kernelIihLj64ELj1EENSt9enable_ifIXsr10test_utilsE35device_test_enabled_for_warp_size_vIXT2_EEEvE4typeEPT_PT0_S4_
    .private_segment_fixed_size: 0
    .sgpr_count:     18
    .sgpr_spill_count: 0
    .symbol:         _Z33tail_segmented_warp_reduce_kernelIihLj64ELj1EENSt9enable_ifIXsr10test_utilsE35device_test_enabled_for_warp_size_vIXT2_EEEvE4typeEPT_PT0_S4_.kd
    .uniform_work_group_size: 1
    .uses_dynamic_stack: false
    .vgpr_count:     4
    .vgpr_spill_count: 0
    .wavefront_size: 32
    .workgroup_processor_mode: 1
amdhsa.target:   amdgcn-amd-amdhsa--gfx1100
amdhsa.version:
  - 1
  - 2
...

	.end_amdgpu_metadata
